;; amdgpu-corpus repo=ROCm/rocFFT kind=compiled arch=gfx906 opt=O3
	.text
	.amdgcn_target "amdgcn-amd-amdhsa--gfx906"
	.amdhsa_code_object_version 6
	.protected	fft_rtc_fwd_len3000_factors_10_3_10_10_wgs_100_tpt_100_halfLds_dp_ip_CI_sbrr_dirReg ; -- Begin function fft_rtc_fwd_len3000_factors_10_3_10_10_wgs_100_tpt_100_halfLds_dp_ip_CI_sbrr_dirReg
	.globl	fft_rtc_fwd_len3000_factors_10_3_10_10_wgs_100_tpt_100_halfLds_dp_ip_CI_sbrr_dirReg
	.p2align	8
	.type	fft_rtc_fwd_len3000_factors_10_3_10_10_wgs_100_tpt_100_halfLds_dp_ip_CI_sbrr_dirReg,@function
fft_rtc_fwd_len3000_factors_10_3_10_10_wgs_100_tpt_100_halfLds_dp_ip_CI_sbrr_dirReg: ; @fft_rtc_fwd_len3000_factors_10_3_10_10_wgs_100_tpt_100_halfLds_dp_ip_CI_sbrr_dirReg
; %bb.0:
	s_load_dwordx2 s[14:15], s[4:5], 0x18
	s_load_dwordx4 s[8:11], s[4:5], 0x0
	s_load_dwordx2 s[12:13], s[4:5], 0x50
	v_mul_u32_u24_e32 v1, 0x290, v0
	v_add_u32_sdwa v5, s6, v1 dst_sel:DWORD dst_unused:UNUSED_PAD src0_sel:DWORD src1_sel:WORD_1
	s_waitcnt lgkmcnt(0)
	s_load_dwordx2 s[2:3], s[14:15], 0x0
	v_cmp_lt_u64_e64 s[0:1], s[10:11], 2
	v_mov_b32_e32 v3, 0
	v_mov_b32_e32 v1, 0
	;; [unrolled: 1-line block ×3, first 2 shown]
	s_and_b64 vcc, exec, s[0:1]
	v_mov_b32_e32 v2, 0
	s_cbranch_vccnz .LBB0_8
; %bb.1:
	s_load_dwordx2 s[0:1], s[4:5], 0x10
	s_add_u32 s6, s14, 8
	s_addc_u32 s7, s15, 0
	v_mov_b32_e32 v1, 0
	v_mov_b32_e32 v2, 0
	s_waitcnt lgkmcnt(0)
	s_add_u32 s16, s0, 8
	s_addc_u32 s17, s1, 0
	s_mov_b64 s[18:19], 1
.LBB0_2:                                ; =>This Inner Loop Header: Depth=1
	s_load_dwordx2 s[20:21], s[16:17], 0x0
                                        ; implicit-def: $vgpr7_vgpr8
	s_waitcnt lgkmcnt(0)
	v_or_b32_e32 v4, s21, v6
	v_cmp_ne_u64_e32 vcc, 0, v[3:4]
	s_and_saveexec_b64 s[0:1], vcc
	s_xor_b64 s[22:23], exec, s[0:1]
	s_cbranch_execz .LBB0_4
; %bb.3:                                ;   in Loop: Header=BB0_2 Depth=1
	v_cvt_f32_u32_e32 v4, s20
	v_cvt_f32_u32_e32 v7, s21
	s_sub_u32 s0, 0, s20
	s_subb_u32 s1, 0, s21
	v_mac_f32_e32 v4, 0x4f800000, v7
	v_rcp_f32_e32 v4, v4
	v_mul_f32_e32 v4, 0x5f7ffffc, v4
	v_mul_f32_e32 v7, 0x2f800000, v4
	v_trunc_f32_e32 v7, v7
	v_mac_f32_e32 v4, 0xcf800000, v7
	v_cvt_u32_f32_e32 v7, v7
	v_cvt_u32_f32_e32 v4, v4
	v_mul_lo_u32 v8, s0, v7
	v_mul_hi_u32 v9, s0, v4
	v_mul_lo_u32 v11, s1, v4
	v_mul_lo_u32 v10, s0, v4
	v_add_u32_e32 v8, v9, v8
	v_add_u32_e32 v8, v8, v11
	v_mul_hi_u32 v9, v4, v10
	v_mul_lo_u32 v11, v4, v8
	v_mul_hi_u32 v13, v4, v8
	v_mul_hi_u32 v12, v7, v10
	v_mul_lo_u32 v10, v7, v10
	v_mul_hi_u32 v14, v7, v8
	v_add_co_u32_e32 v9, vcc, v9, v11
	v_addc_co_u32_e32 v11, vcc, 0, v13, vcc
	v_mul_lo_u32 v8, v7, v8
	v_add_co_u32_e32 v9, vcc, v9, v10
	v_addc_co_u32_e32 v9, vcc, v11, v12, vcc
	v_addc_co_u32_e32 v10, vcc, 0, v14, vcc
	v_add_co_u32_e32 v8, vcc, v9, v8
	v_addc_co_u32_e32 v9, vcc, 0, v10, vcc
	v_add_co_u32_e32 v4, vcc, v4, v8
	v_addc_co_u32_e32 v7, vcc, v7, v9, vcc
	v_mul_lo_u32 v8, s0, v7
	v_mul_hi_u32 v9, s0, v4
	v_mul_lo_u32 v10, s1, v4
	v_mul_lo_u32 v11, s0, v4
	v_add_u32_e32 v8, v9, v8
	v_add_u32_e32 v8, v8, v10
	v_mul_lo_u32 v12, v4, v8
	v_mul_hi_u32 v13, v4, v11
	v_mul_hi_u32 v14, v4, v8
	;; [unrolled: 1-line block ×3, first 2 shown]
	v_mul_lo_u32 v11, v7, v11
	v_mul_hi_u32 v9, v7, v8
	v_add_co_u32_e32 v12, vcc, v13, v12
	v_addc_co_u32_e32 v13, vcc, 0, v14, vcc
	v_mul_lo_u32 v8, v7, v8
	v_add_co_u32_e32 v11, vcc, v12, v11
	v_addc_co_u32_e32 v10, vcc, v13, v10, vcc
	v_addc_co_u32_e32 v9, vcc, 0, v9, vcc
	v_add_co_u32_e32 v8, vcc, v10, v8
	v_addc_co_u32_e32 v9, vcc, 0, v9, vcc
	v_add_co_u32_e32 v4, vcc, v4, v8
	v_addc_co_u32_e32 v9, vcc, v7, v9, vcc
	v_mad_u64_u32 v[7:8], s[0:1], v5, v9, 0
	v_mul_hi_u32 v10, v5, v4
	v_add_co_u32_e32 v11, vcc, v10, v7
	v_addc_co_u32_e32 v12, vcc, 0, v8, vcc
	v_mad_u64_u32 v[7:8], s[0:1], v6, v4, 0
	v_mad_u64_u32 v[9:10], s[0:1], v6, v9, 0
	v_add_co_u32_e32 v4, vcc, v11, v7
	v_addc_co_u32_e32 v4, vcc, v12, v8, vcc
	v_addc_co_u32_e32 v7, vcc, 0, v10, vcc
	v_add_co_u32_e32 v4, vcc, v4, v9
	v_addc_co_u32_e32 v9, vcc, 0, v7, vcc
	v_mul_lo_u32 v10, s21, v4
	v_mul_lo_u32 v11, s20, v9
	v_mad_u64_u32 v[7:8], s[0:1], s20, v4, 0
	v_add3_u32 v8, v8, v11, v10
	v_sub_u32_e32 v10, v6, v8
	v_mov_b32_e32 v11, s21
	v_sub_co_u32_e32 v7, vcc, v5, v7
	v_subb_co_u32_e64 v10, s[0:1], v10, v11, vcc
	v_subrev_co_u32_e64 v11, s[0:1], s20, v7
	v_subbrev_co_u32_e64 v10, s[0:1], 0, v10, s[0:1]
	v_cmp_le_u32_e64 s[0:1], s21, v10
	v_cndmask_b32_e64 v12, 0, -1, s[0:1]
	v_cmp_le_u32_e64 s[0:1], s20, v11
	v_cndmask_b32_e64 v11, 0, -1, s[0:1]
	v_cmp_eq_u32_e64 s[0:1], s21, v10
	v_cndmask_b32_e64 v10, v12, v11, s[0:1]
	v_add_co_u32_e64 v11, s[0:1], 2, v4
	v_addc_co_u32_e64 v12, s[0:1], 0, v9, s[0:1]
	v_add_co_u32_e64 v13, s[0:1], 1, v4
	v_addc_co_u32_e64 v14, s[0:1], 0, v9, s[0:1]
	v_subb_co_u32_e32 v8, vcc, v6, v8, vcc
	v_cmp_ne_u32_e64 s[0:1], 0, v10
	v_cmp_le_u32_e32 vcc, s21, v8
	v_cndmask_b32_e64 v10, v14, v12, s[0:1]
	v_cndmask_b32_e64 v12, 0, -1, vcc
	v_cmp_le_u32_e32 vcc, s20, v7
	v_cndmask_b32_e64 v7, 0, -1, vcc
	v_cmp_eq_u32_e32 vcc, s21, v8
	v_cndmask_b32_e32 v7, v12, v7, vcc
	v_cmp_ne_u32_e32 vcc, 0, v7
	v_cndmask_b32_e64 v7, v13, v11, s[0:1]
	v_cndmask_b32_e32 v8, v9, v10, vcc
	v_cndmask_b32_e32 v7, v4, v7, vcc
.LBB0_4:                                ;   in Loop: Header=BB0_2 Depth=1
	s_andn2_saveexec_b64 s[0:1], s[22:23]
	s_cbranch_execz .LBB0_6
; %bb.5:                                ;   in Loop: Header=BB0_2 Depth=1
	v_cvt_f32_u32_e32 v4, s20
	s_sub_i32 s22, 0, s20
	v_rcp_iflag_f32_e32 v4, v4
	v_mul_f32_e32 v4, 0x4f7ffffe, v4
	v_cvt_u32_f32_e32 v4, v4
	v_mul_lo_u32 v7, s22, v4
	v_mul_hi_u32 v7, v4, v7
	v_add_u32_e32 v4, v4, v7
	v_mul_hi_u32 v4, v5, v4
	v_mul_lo_u32 v7, v4, s20
	v_add_u32_e32 v8, 1, v4
	v_sub_u32_e32 v7, v5, v7
	v_subrev_u32_e32 v9, s20, v7
	v_cmp_le_u32_e32 vcc, s20, v7
	v_cndmask_b32_e32 v7, v7, v9, vcc
	v_cndmask_b32_e32 v4, v4, v8, vcc
	v_add_u32_e32 v8, 1, v4
	v_cmp_le_u32_e32 vcc, s20, v7
	v_cndmask_b32_e32 v7, v4, v8, vcc
	v_mov_b32_e32 v8, v3
.LBB0_6:                                ;   in Loop: Header=BB0_2 Depth=1
	s_or_b64 exec, exec, s[0:1]
	v_mul_lo_u32 v4, v8, s20
	v_mul_lo_u32 v11, v7, s21
	v_mad_u64_u32 v[9:10], s[0:1], v7, s20, 0
	s_load_dwordx2 s[0:1], s[6:7], 0x0
	s_add_u32 s18, s18, 1
	v_add3_u32 v4, v10, v11, v4
	v_sub_co_u32_e32 v5, vcc, v5, v9
	v_subb_co_u32_e32 v4, vcc, v6, v4, vcc
	s_waitcnt lgkmcnt(0)
	v_mul_lo_u32 v4, s0, v4
	v_mul_lo_u32 v6, s1, v5
	v_mad_u64_u32 v[1:2], s[0:1], s0, v5, v[1:2]
	s_addc_u32 s19, s19, 0
	s_add_u32 s6, s6, 8
	v_add3_u32 v2, v6, v2, v4
	v_mov_b32_e32 v4, s10
	v_mov_b32_e32 v5, s11
	s_addc_u32 s7, s7, 0
	v_cmp_ge_u64_e32 vcc, s[18:19], v[4:5]
	s_add_u32 s16, s16, 8
	s_addc_u32 s17, s17, 0
	s_cbranch_vccnz .LBB0_9
; %bb.7:                                ;   in Loop: Header=BB0_2 Depth=1
	v_mov_b32_e32 v5, v7
	v_mov_b32_e32 v6, v8
	s_branch .LBB0_2
.LBB0_8:
	v_mov_b32_e32 v8, v6
	v_mov_b32_e32 v7, v5
.LBB0_9:
	s_lshl_b64 s[0:1], s[10:11], 3
	s_add_u32 s0, s14, s0
	s_addc_u32 s1, s15, s1
	s_load_dwordx2 s[6:7], s[0:1], 0x0
	s_load_dwordx2 s[10:11], s[4:5], 0x20
                                        ; implicit-def: $vgpr123
                                        ; implicit-def: $vgpr124
                                        ; implicit-def: $vgpr132
                                        ; implicit-def: $vgpr134
                                        ; implicit-def: $vgpr136
                                        ; implicit-def: $vgpr131
                                        ; implicit-def: $vgpr133
                                        ; implicit-def: $vgpr135
                                        ; implicit-def: $vgpr130
	s_waitcnt lgkmcnt(0)
	v_mad_u64_u32 v[1:2], s[0:1], s6, v7, v[1:2]
	s_mov_b32 s0, 0x28f5c29
	v_mul_lo_u32 v3, s6, v8
	v_mul_lo_u32 v4, s7, v7
	v_mul_hi_u32 v5, v0, s0
	v_cmp_gt_u64_e32 vcc, s[10:11], v[7:8]
	v_cmp_le_u64_e64 s[0:1], s[10:11], v[7:8]
	v_add3_u32 v2, v4, v2, v3
	v_mul_u32_u24_e32 v3, 0x64, v5
	v_sub_u32_e32 v122, v0, v3
	s_and_saveexec_b64 s[4:5], s[0:1]
	s_xor_b64 s[0:1], exec, s[4:5]
; %bb.10:
	v_add_u32_e32 v123, 0x64, v122
	v_add_u32_e32 v124, 0xc8, v122
	v_add_u32_e32 v132, 0x12c, v122
	v_add_u32_e32 v134, 0x190, v122
	v_add_u32_e32 v136, 0x1f4, v122
	v_add_u32_e32 v131, 0x258, v122
	v_add_u32_e32 v133, 0x2bc, v122
	v_add_u32_e32 v135, 0x320, v122
	v_add_u32_e32 v130, 0x384, v122
; %bb.11:
	s_or_saveexec_b64 s[4:5], s[0:1]
	v_lshlrev_b64 v[120:121], 4, v[1:2]
                                        ; implicit-def: $vgpr2_vgpr3
                                        ; implicit-def: $vgpr38_vgpr39
                                        ; implicit-def: $vgpr6_vgpr7
                                        ; implicit-def: $vgpr34_vgpr35
                                        ; implicit-def: $vgpr14_vgpr15
                                        ; implicit-def: $vgpr30_vgpr31
                                        ; implicit-def: $vgpr10_vgpr11
                                        ; implicit-def: $vgpr22_vgpr23
                                        ; implicit-def: $vgpr18_vgpr19
                                        ; implicit-def: $vgpr26_vgpr27
                                        ; implicit-def: $vgpr58_vgpr59
                                        ; implicit-def: $vgpr102_vgpr103
                                        ; implicit-def: $vgpr66_vgpr67
                                        ; implicit-def: $vgpr98_vgpr99
                                        ; implicit-def: $vgpr78_vgpr79
                                        ; implicit-def: $vgpr94_vgpr95
                                        ; implicit-def: $vgpr70_vgpr71
                                        ; implicit-def: $vgpr90_vgpr91
                                        ; implicit-def: $vgpr74_vgpr75
                                        ; implicit-def: $vgpr118_vgpr119
                                        ; implicit-def: $vgpr42_vgpr43
                                        ; implicit-def: $vgpr86_vgpr87
                                        ; implicit-def: $vgpr46_vgpr47
                                        ; implicit-def: $vgpr82_vgpr83
                                        ; implicit-def: $vgpr54_vgpr55
                                        ; implicit-def: $vgpr110_vgpr111
                                        ; implicit-def: $vgpr50_vgpr51
                                        ; implicit-def: $vgpr106_vgpr107
                                        ; implicit-def: $vgpr62_vgpr63
                                        ; implicit-def: $vgpr114_vgpr115
	s_xor_b64 exec, exec, s[4:5]
	s_cbranch_execz .LBB0_13
; %bb.12:
	v_mad_u64_u32 v[0:1], s[0:1], s2, v122, 0
	v_add_u32_e32 v132, 0x12c, v122
	v_mov_b32_e32 v4, s13
	v_mad_u64_u32 v[1:2], s[0:1], s3, v122, v[1:2]
	v_mad_u64_u32 v[2:3], s[0:1], s2, v132, 0
	v_add_co_u32_e64 v18, s[0:1], s12, v120
	v_add_u32_e32 v131, 0x258, v122
	v_addc_co_u32_e64 v19, s[0:1], v4, v121, s[0:1]
	v_mad_u64_u32 v[6:7], s[0:1], s2, v131, 0
	v_lshlrev_b64 v[0:1], 4, v[0:1]
	v_mad_u64_u32 v[3:4], s[0:1], s3, v132, v[3:4]
	v_add_co_u32_e64 v0, s[0:1], v18, v0
	v_mov_b32_e32 v4, v7
	v_addc_co_u32_e64 v1, s[0:1], v19, v1, s[0:1]
	v_mad_u64_u32 v[7:8], s[0:1], s3, v131, v[4:5]
	v_add_u32_e32 v130, 0x384, v122
	v_mad_u64_u32 v[8:9], s[0:1], s2, v130, 0
	v_lshlrev_b64 v[2:3], 4, v[2:3]
	v_add_u32_e32 v12, 0x4b0, v122
	v_add_co_u32_e64 v4, s[0:1], v18, v2
	v_addc_co_u32_e64 v5, s[0:1], v19, v3, s[0:1]
	v_lshlrev_b64 v[2:3], 4, v[6:7]
	v_mov_b32_e32 v6, v9
	v_mad_u64_u32 v[6:7], s[0:1], s3, v130, v[6:7]
	v_mad_u64_u32 v[10:11], s[0:1], s2, v12, 0
	v_mov_b32_e32 v9, v6
	v_add_co_u32_e64 v2, s[0:1], v18, v2
	v_lshlrev_b64 v[6:7], 4, v[8:9]
	v_mov_b32_e32 v8, v11
	v_addc_co_u32_e64 v3, s[0:1], v19, v3, s[0:1]
	v_mad_u64_u32 v[8:9], s[0:1], s3, v12, v[8:9]
	v_add_u32_e32 v14, 0x5dc, v122
	v_mad_u64_u32 v[12:13], s[0:1], s2, v14, 0
	v_mov_b32_e32 v11, v8
	v_add_co_u32_e64 v6, s[0:1], v18, v6
	v_lshlrev_b64 v[8:9], 4, v[10:11]
	v_mov_b32_e32 v10, v13
	v_addc_co_u32_e64 v7, s[0:1], v19, v7, s[0:1]
	v_mad_u64_u32 v[10:11], s[0:1], s3, v14, v[10:11]
	v_add_u32_e32 v16, 0x708, v122
	;; [unrolled: 8-line block ×16, first 2 shown]
	v_mad_u64_u32 v[44:45], s[0:1], s2, v124, 0
	v_mov_b32_e32 v43, v40
	v_add_co_u32_e64 v38, s[0:1], v18, v38
	v_lshlrev_b64 v[40:41], 4, v[42:43]
	v_mov_b32_e32 v42, v45
	v_add_u32_e32 v136, 0x1f4, v122
	v_addc_co_u32_e64 v39, s[0:1], v19, v39, s[0:1]
	v_mad_u64_u32 v[42:43], s[0:1], s3, v124, v[42:43]
	v_mad_u64_u32 v[46:47], s[0:1], s2, v136, 0
	v_add_co_u32_e64 v125, s[0:1], v18, v40
	v_mov_b32_e32 v45, v42
	v_mov_b32_e32 v42, v47
	v_addc_co_u32_e64 v126, s[0:1], v19, v41, s[0:1]
	v_mad_u64_u32 v[42:43], s[0:1], s3, v136, v[42:43]
	v_add_u32_e32 v135, 0x320, v122
	v_lshlrev_b64 v[40:41], 4, v[44:45]
	v_mad_u64_u32 v[43:44], s[0:1], s2, v135, 0
	v_add_co_u32_e64 v127, s[0:1], v18, v40
	v_mov_b32_e32 v47, v42
	v_mov_b32_e32 v42, v44
	v_addc_co_u32_e64 v128, s[0:1], v19, v41, s[0:1]
	v_lshlrev_b64 v[40:41], 4, v[46:47]
	v_mad_u64_u32 v[44:45], s[0:1], s3, v135, v[42:43]
	v_add_u32_e32 v47, 0x44c, v122
	v_mad_u64_u32 v[45:46], s[0:1], s2, v47, 0
	v_add_co_u32_e64 v137, s[0:1], v18, v40
	v_mov_b32_e32 v42, v46
	v_addc_co_u32_e64 v138, s[0:1], v19, v41, s[0:1]
	v_lshlrev_b64 v[40:41], 4, v[43:44]
	v_mad_u64_u32 v[42:43], s[0:1], s3, v47, v[42:43]
	v_add_u32_e32 v47, 0x578, v122
	v_mad_u64_u32 v[43:44], s[0:1], s2, v47, 0
	v_add_co_u32_e64 v139, s[0:1], v18, v40
	v_mov_b32_e32 v46, v42
	v_mov_b32_e32 v42, v44
	v_addc_co_u32_e64 v140, s[0:1], v19, v41, s[0:1]
	v_lshlrev_b64 v[40:41], 4, v[45:46]
	v_mad_u64_u32 v[44:45], s[0:1], s3, v47, v[42:43]
	v_add_u32_e32 v47, 0x6a4, v122
	v_mad_u64_u32 v[45:46], s[0:1], s2, v47, 0
	v_add_co_u32_e64 v141, s[0:1], v18, v40
	v_mov_b32_e32 v42, v46
	v_addc_co_u32_e64 v142, s[0:1], v19, v41, s[0:1]
	v_lshlrev_b64 v[40:41], 4, v[43:44]
	v_mad_u64_u32 v[42:43], s[0:1], s3, v47, v[42:43]
	v_add_u32_e32 v47, 0x7d0, v122
	;; [unrolled: 15-line block ×3, first 2 shown]
	v_mad_u64_u32 v[43:44], s[0:1], s2, v47, 0
	v_add_co_u32_e64 v147, s[0:1], v18, v40
	v_mov_b32_e32 v46, v42
	v_mov_b32_e32 v42, v44
	v_addc_co_u32_e64 v148, s[0:1], v19, v41, s[0:1]
	v_lshlrev_b64 v[40:41], 4, v[45:46]
	v_mad_u64_u32 v[44:45], s[0:1], s3, v47, v[42:43]
	v_add_u32_e32 v47, 0xb54, v122
	v_mad_u64_u32 v[45:46], s[0:1], s2, v47, 0
	v_add_co_u32_e64 v149, s[0:1], v18, v40
	v_mov_b32_e32 v42, v46
	v_addc_co_u32_e64 v150, s[0:1], v19, v41, s[0:1]
	v_lshlrev_b64 v[40:41], 4, v[43:44]
	v_mad_u64_u32 v[42:43], s[0:1], s3, v47, v[42:43]
	v_add_co_u32_e64 v151, s[0:1], v18, v40
	v_mov_b32_e32 v46, v42
	global_load_dwordx4 v[112:115], v[0:1], off
	global_load_dwordx4 v[60:63], v[4:5], off
	v_lshlrev_b64 v[0:1], 4, v[45:46]
	v_addc_co_u32_e64 v152, s[0:1], v19, v41, s[0:1]
	v_add_co_u32_e64 v0, s[0:1], v18, v0
	v_addc_co_u32_e64 v1, s[0:1], v19, v1, s[0:1]
	global_load_dwordx4 v[104:107], v[2:3], off
	global_load_dwordx4 v[48:51], v[6:7], off
	;; [unrolled: 1-line block ×13, first 2 shown]
                                        ; kill: killed $vgpr20 killed $vgpr21
                                        ; kill: killed $vgpr26 killed $vgpr27
                                        ; kill: killed $vgpr28 killed $vgpr29
                                        ; kill: killed $vgpr6 killed $vgpr7
                                        ; kill: killed $vgpr30 killed $vgpr31
                                        ; kill: killed $vgpr8 killed $vgpr9
                                        ; kill: killed $vgpr24 killed $vgpr25
                                        ; kill: killed $vgpr10 killed $vgpr11
                                        ; kill: killed $vgpr2 killed $vgpr3
                                        ; kill: killed $vgpr12 killed $vgpr13
                                        ; kill: killed $vgpr22 killed $vgpr23
                                        ; kill: killed $vgpr14 killed $vgpr15
                                        ; kill: killed $vgpr16 killed $vgpr17
	global_load_dwordx4 v[76:79], v[32:33], off
	global_load_dwordx4 v[96:99], v[34:35], off
	;; [unrolled: 1-line block ×6, first 2 shown]
                                        ; kill: killed $vgpr125 killed $vgpr126
                                        ; kill: killed $vgpr32 killed $vgpr33
                                        ; kill: killed $vgpr34 killed $vgpr35
                                        ; kill: killed $vgpr127 killed $vgpr128
                                        ; kill: killed $vgpr36 killed $vgpr37
                                        ; kill: killed $vgpr38 killed $vgpr39
	global_load_dwordx4 v[16:19], v[137:138], off
	global_load_dwordx4 v[20:23], v[139:140], off
	;; [unrolled: 1-line block ×3, first 2 shown]
                                        ; kill: killed $vgpr139 killed $vgpr140
                                        ; kill: killed $vgpr141 killed $vgpr142
                                        ; kill: killed $vgpr137 killed $vgpr138
	global_load_dwordx4 v[28:31], v[143:144], off
	global_load_dwordx4 v[12:15], v[145:146], off
                                        ; kill: killed $vgpr143 killed $vgpr144
                                        ; kill: killed $vgpr145 killed $vgpr146
	global_load_dwordx4 v[32:35], v[147:148], off
	global_load_dwordx4 v[4:7], v[149:150], off
	global_load_dwordx4 v[36:39], v[151:152], off
	s_nop 0
	global_load_dwordx4 v[0:3], v[0:1], off
.LBB0_13:
	s_or_b64 exec, exec, s[4:5]
	s_waitcnt vmcnt(23)
	v_add_f64 v[125:126], v[80:81], v[108:109]
	v_add_f64 v[127:128], v[104:105], v[112:113]
	s_waitcnt vmcnt(21)
	v_add_f64 v[137:138], v[106:107], -v[86:87]
	v_add_f64 v[145:146], v[84:85], v[104:105]
	s_mov_b32 s4, 0x134454ff
	s_mov_b32 s5, 0x3fee6f0e
	;; [unrolled: 1-line block ×4, first 2 shown]
	v_fma_f64 v[125:126], v[125:126], -0.5, v[112:113]
	v_add_f64 v[127:128], v[108:109], v[127:128]
	v_add_f64 v[139:140], v[110:111], -v[82:83]
	v_add_f64 v[141:142], v[104:105], -v[108:109]
	;; [unrolled: 1-line block ×3, first 2 shown]
	v_fma_f64 v[112:113], v[145:146], -0.5, v[112:113]
	s_mov_b32 s6, 0x4755a5e
	s_mov_b32 s7, 0x3fe2cf23
	v_fma_f64 v[147:148], v[137:138], s[4:5], v[125:126]
	v_add_f64 v[127:128], v[80:81], v[127:128]
	v_fma_f64 v[125:126], v[137:138], s[16:17], v[125:126]
	s_mov_b32 s15, 0xbfe2cf23
	s_mov_b32 s14, s6
	v_add_f64 v[149:150], v[108:109], -v[104:105]
	v_add_f64 v[145:146], v[80:81], -v[84:85]
	v_add_f64 v[151:152], v[82:83], v[110:111]
	v_add_f64 v[141:142], v[143:144], v[141:142]
	v_fma_f64 v[143:144], v[139:140], s[6:7], v[147:148]
	v_fma_f64 v[147:148], v[139:140], s[16:17], v[112:113]
	v_add_f64 v[153:154], v[106:107], v[114:115]
	v_add_f64 v[104:105], v[104:105], -v[84:85]
	v_add_f64 v[127:128], v[84:85], v[127:128]
	v_fma_f64 v[84:85], v[139:140], s[14:15], v[125:126]
	v_fma_f64 v[112:113], v[139:140], s[4:5], v[112:113]
	s_mov_b32 s10, 0x372fe950
	s_mov_b32 s11, 0x3fd3c6ef
	v_fma_f64 v[151:152], v[151:152], -0.5, v[114:115]
	v_fma_f64 v[143:144], v[141:142], s[10:11], v[143:144]
	v_fma_f64 v[125:126], v[137:138], s[6:7], v[147:148]
	v_add_f64 v[145:146], v[145:146], v[149:150]
	v_add_f64 v[139:140], v[110:111], v[153:154]
	v_add_f64 v[80:81], v[108:109], -v[80:81]
	v_add_f64 v[108:109], v[106:107], -v[110:111]
	;; [unrolled: 1-line block ×3, first 2 shown]
	v_fma_f64 v[141:142], v[141:142], s[10:11], v[84:85]
	v_add_f64 v[84:85], v[86:87], v[106:107]
	v_fma_f64 v[112:113], v[137:138], s[14:15], v[112:113]
	v_fma_f64 v[147:148], v[104:105], s[16:17], v[151:152]
	v_add_f64 v[137:138], v[82:83], v[139:140]
	v_fma_f64 v[125:126], v[145:146], s[10:11], v[125:126]
	v_add_f64 v[139:140], v[44:45], v[52:53]
	v_add_f64 v[108:109], v[149:150], v[108:109]
	v_fma_f64 v[149:150], v[104:105], s[4:5], v[151:152]
	v_fma_f64 v[84:85], v[84:85], -0.5, v[114:115]
	v_fma_f64 v[145:146], v[145:146], s[10:11], v[112:113]
	v_add_f64 v[112:113], v[48:49], v[60:61]
	v_fma_f64 v[147:148], v[80:81], s[14:15], v[147:148]
	v_add_f64 v[137:138], v[86:87], v[137:138]
	v_fma_f64 v[114:115], v[139:140], -0.5, v[60:61]
	s_waitcnt vmcnt(20)
	v_add_f64 v[139:140], v[50:51], -v[42:43]
	v_fma_f64 v[149:150], v[80:81], s[6:7], v[149:150]
	v_fma_f64 v[151:152], v[80:81], s[4:5], v[84:85]
	;; [unrolled: 1-line block ×3, first 2 shown]
	v_add_f64 v[84:85], v[52:53], v[112:113]
	v_add_f64 v[106:107], v[110:111], -v[106:107]
	v_add_f64 v[82:83], v[82:83], -v[86:87]
	;; [unrolled: 1-line block ×3, first 2 shown]
	v_fma_f64 v[86:87], v[139:140], s[4:5], v[114:115]
	v_add_f64 v[112:113], v[48:49], -v[52:53]
	v_add_f64 v[153:154], v[40:41], -v[44:45]
	v_fma_f64 v[114:115], v[139:140], s[16:17], v[114:115]
	v_add_f64 v[155:156], v[40:41], v[48:49]
	v_add_f64 v[84:85], v[44:45], v[84:85]
	v_fma_f64 v[147:148], v[108:109], s[10:11], v[147:148]
	v_fma_f64 v[151:152], v[104:105], s[14:15], v[151:152]
	v_add_f64 v[82:83], v[82:83], v[106:107]
	v_fma_f64 v[80:81], v[104:105], s[6:7], v[80:81]
	v_fma_f64 v[86:87], v[110:111], s[6:7], v[86:87]
	v_add_f64 v[104:105], v[153:154], v[112:113]
	v_fma_f64 v[106:107], v[110:111], s[14:15], v[114:115]
	v_fma_f64 v[60:61], v[155:156], -0.5, v[60:61]
	v_fma_f64 v[149:150], v[108:109], s[10:11], v[149:150]
	v_add_f64 v[108:109], v[46:47], v[54:55]
	v_add_f64 v[112:113], v[40:41], v[84:85]
	;; [unrolled: 1-line block ×3, first 2 shown]
	v_fma_f64 v[151:152], v[82:83], s[10:11], v[151:152]
	v_fma_f64 v[153:154], v[82:83], s[10:11], v[80:81]
	;; [unrolled: 1-line block ×5, first 2 shown]
	v_fma_f64 v[104:105], v[108:109], -0.5, v[62:63]
	v_add_f64 v[106:107], v[48:49], -v[40:41]
	v_add_f64 v[48:49], v[52:53], -v[48:49]
	;; [unrolled: 1-line block ×3, first 2 shown]
	v_fma_f64 v[60:61], v[110:111], s[4:5], v[60:61]
	v_add_f64 v[108:109], v[50:51], v[62:63]
	v_add_f64 v[44:45], v[52:53], -v[44:45]
	v_fma_f64 v[52:53], v[84:85], -0.5, v[62:63]
	v_add_f64 v[84:85], v[50:51], -v[54:55]
	v_add_f64 v[50:51], v[54:55], -v[50:51]
	v_fma_f64 v[62:63], v[139:140], s[6:7], v[80:81]
	v_add_f64 v[40:41], v[40:41], v[48:49]
	v_fma_f64 v[48:49], v[139:140], s[14:15], v[60:61]
	v_add_f64 v[60:61], v[54:55], v[108:109]
	v_add_f64 v[54:55], v[46:47], -v[42:43]
	v_fma_f64 v[108:109], v[44:45], s[4:5], v[52:53]
	v_fma_f64 v[52:53], v[44:45], s[16:17], v[52:53]
	;; [unrolled: 1-line block ×3, first 2 shown]
	v_add_f64 v[110:111], v[42:43], -v[46:47]
	v_fma_f64 v[104:105], v[106:107], s[4:5], v[104:105]
	s_mov_b32 s18, 0x9b97f4a8
	v_add_f64 v[46:47], v[46:47], v[60:61]
	v_add_f64 v[50:51], v[54:55], v[50:51]
	s_mov_b32 s19, 0x3fe9e377
	v_fma_f64 v[52:53], v[106:107], s[6:7], v[52:53]
	v_fma_f64 v[80:81], v[44:45], s[14:15], v[80:81]
	v_add_f64 v[84:85], v[110:111], v[84:85]
	v_fma_f64 v[62:63], v[40:41], s[10:11], v[62:63]
	v_fma_f64 v[40:41], v[40:41], s[10:11], v[48:49]
	v_add_f64 v[42:43], v[42:43], v[46:47]
	v_fma_f64 v[48:49], v[106:107], s[14:15], v[108:109]
	v_fma_f64 v[44:45], v[44:45], s[6:7], v[104:105]
	;; [unrolled: 1-line block ×3, first 2 shown]
	v_mul_f64 v[60:61], v[82:83], s[18:19]
	v_fma_f64 v[54:55], v[84:85], s[10:11], v[80:81]
	v_mul_f64 v[104:105], v[62:63], s[10:11]
	v_add_f64 v[80:81], v[112:113], v[127:128]
	v_mul_f64 v[62:63], v[62:63], s[16:17]
	v_fma_f64 v[48:49], v[50:51], s[10:11], v[48:49]
	v_fma_f64 v[44:45], v[84:85], s[10:11], v[44:45]
	v_mul_f64 v[106:107], v[46:47], s[10:11]
	v_mul_f64 v[50:51], v[40:41], s[10:11]
	v_fma_f64 v[52:53], v[54:55], s[6:7], v[60:61]
	v_mul_f64 v[60:61], v[86:87], s[18:19]
	s_waitcnt vmcnt(11)
	v_add_f64 v[163:164], v[90:91], -v[102:103]
	v_add_f64 v[159:160], v[88:89], v[116:117]
	v_fma_f64 v[108:109], v[48:49], s[4:5], v[104:105]
	v_mul_f64 v[104:105], v[82:83], s[14:15]
	v_fma_f64 v[155:156], v[40:41], s[16:17], -v[106:107]
	v_add_f64 v[106:107], v[96:97], v[92:93]
	v_mul_f64 v[110:111], v[44:45], s[18:19]
	v_fma_f64 v[139:140], v[46:47], s[4:5], -v[50:51]
	v_fma_f64 v[60:61], v[44:45], s[6:7], -v[60:61]
	v_fma_f64 v[62:63], v[48:49], s[10:11], v[62:63]
	v_add_f64 v[84:85], v[125:126], v[108:109]
	v_fma_f64 v[54:55], v[54:55], s[18:19], v[104:105]
	v_add_f64 v[114:115], v[125:126], -v[108:109]
	v_fma_f64 v[161:162], v[106:107], -0.5, v[116:117]
	v_add_f64 v[106:107], v[127:128], -v[112:113]
	v_add_f64 v[127:128], v[100:101], v[88:89]
	v_fma_f64 v[157:158], v[86:87], s[14:15], -v[110:111]
	v_add_f64 v[86:87], v[145:146], v[139:140]
	v_add_f64 v[104:105], v[141:142], v[60:61]
	v_add_f64 v[108:109], v[145:146], -v[139:140]
	v_add_f64 v[110:111], v[141:142], -v[60:61]
	v_fma_f64 v[139:140], v[163:164], s[4:5], v[161:162]
	v_add_f64 v[141:142], v[94:95], -v[98:99]
	v_fma_f64 v[116:117], v[127:128], -0.5, v[116:117]
	v_add_f64 v[82:83], v[143:144], v[52:53]
	v_add_f64 v[48:49], v[42:43], v[137:138]
	;; [unrolled: 1-line block ×6, first 2 shown]
	v_add_f64 v[112:113], v[143:144], -v[52:53]
	v_add_f64 v[125:126], v[92:93], v[159:160]
	v_add_f64 v[42:43], v[137:138], -v[42:43]
	v_add_f64 v[60:61], v[147:148], -v[54:55]
	;; [unrolled: 1-line block ×5, first 2 shown]
	v_fma_f64 v[127:128], v[141:142], s[6:7], v[139:140]
	v_add_f64 v[137:138], v[88:89], -v[92:93]
	v_add_f64 v[139:140], v[90:91], v[118:119]
	v_add_f64 v[143:144], v[98:99], v[94:95]
	v_add_f64 v[145:146], v[100:101], -v[96:97]
	v_fma_f64 v[147:148], v[163:164], s[16:17], v[161:162]
	v_fma_f64 v[149:150], v[141:142], s[16:17], v[116:117]
	v_add_f64 v[151:152], v[92:93], -v[88:89]
	v_add_f64 v[153:154], v[96:97], -v[100:101]
	v_fma_f64 v[116:117], v[141:142], s[4:5], v[116:117]
	v_add_f64 v[125:126], v[96:97], v[125:126]
	v_add_f64 v[139:140], v[94:95], v[139:140]
	v_fma_f64 v[143:144], v[143:144], -0.5, v[118:119]
	v_add_f64 v[88:89], v[88:89], -v[100:101]
	v_add_f64 v[137:138], v[145:146], v[137:138]
	v_fma_f64 v[141:142], v[141:142], s[14:15], v[147:148]
	v_fma_f64 v[145:146], v[163:164], s[6:7], v[149:150]
	v_add_f64 v[147:148], v[153:154], v[151:152]
	v_fma_f64 v[116:117], v[163:164], s[14:15], v[116:117]
	v_add_f64 v[149:150], v[102:103], v[90:91]
	v_add_f64 v[139:140], v[98:99], v[139:140]
	v_fma_f64 v[151:152], v[88:89], s[16:17], v[143:144]
	v_add_f64 v[92:93], v[92:93], -v[96:97]
	v_add_f64 v[96:97], v[100:101], v[125:126]
	v_fma_f64 v[100:101], v[137:138], s[10:11], v[127:128]
	v_fma_f64 v[125:126], v[137:138], s[10:11], v[141:142]
	;; [unrolled: 1-line block ×3, first 2 shown]
	v_fma_f64 v[118:119], v[149:150], -0.5, v[118:119]
	v_fma_f64 v[137:138], v[147:148], s[10:11], v[116:117]
	v_add_f64 v[141:142], v[90:91], -v[94:95]
	v_add_f64 v[145:146], v[64:65], v[76:77]
	v_add_f64 v[147:148], v[102:103], -v[98:99]
	v_fma_f64 v[143:144], v[88:89], s[4:5], v[143:144]
	v_add_f64 v[90:91], v[94:95], -v[90:91]
	v_add_f64 v[94:95], v[98:99], -v[102:103]
	v_add_f64 v[98:99], v[68:69], v[72:73]
	v_add_f64 v[139:140], v[102:103], v[139:140]
	v_fma_f64 v[116:117], v[92:93], s[14:15], v[151:152]
	v_fma_f64 v[149:150], v[92:93], s[4:5], v[118:119]
	;; [unrolled: 1-line block ×3, first 2 shown]
	v_fma_f64 v[118:119], v[145:146], -0.5, v[72:73]
	s_waitcnt vmcnt(10)
	v_add_f64 v[145:146], v[70:71], -v[58:59]
	v_add_f64 v[141:142], v[147:148], v[141:142]
	v_fma_f64 v[92:93], v[92:93], s[6:7], v[143:144]
	v_add_f64 v[90:91], v[94:95], v[90:91]
	v_add_f64 v[94:95], v[76:77], v[98:99]
	;; [unrolled: 1-line block ×3, first 2 shown]
	v_fma_f64 v[143:144], v[88:89], s[14:15], v[149:150]
	v_fma_f64 v[88:89], v[88:89], s[6:7], v[102:103]
	;; [unrolled: 1-line block ×3, first 2 shown]
	v_add_f64 v[147:148], v[78:79], -v[66:67]
	v_add_f64 v[149:150], v[68:69], -v[76:77]
	v_add_f64 v[151:152], v[56:57], -v[64:65]
	v_add_f64 v[94:95], v[64:65], v[94:95]
	v_fma_f64 v[155:156], v[141:142], s[10:11], v[92:93]
	v_fma_f64 v[72:73], v[98:99], -0.5, v[72:73]
	v_add_f64 v[92:93], v[66:67], v[78:79]
	v_fma_f64 v[153:154], v[141:142], s[10:11], v[116:117]
	v_fma_f64 v[98:99], v[90:91], s[10:11], v[143:144]
	;; [unrolled: 1-line block ×4, first 2 shown]
	v_add_f64 v[90:91], v[151:152], v[149:150]
	v_add_f64 v[94:95], v[56:57], v[94:95]
	v_fma_f64 v[102:103], v[145:146], s[16:17], v[118:119]
	v_fma_f64 v[116:117], v[147:148], s[16:17], v[72:73]
	v_add_f64 v[118:119], v[58:59], v[70:71]
	v_add_f64 v[143:144], v[76:77], -v[68:69]
	v_add_f64 v[149:150], v[64:65], -v[56:57]
	v_fma_f64 v[92:93], v[92:93], -0.5, v[74:75]
	v_add_f64 v[56:57], v[68:69], -v[56:57]
	v_add_f64 v[64:65], v[76:77], -v[64:65]
	v_fma_f64 v[68:69], v[147:148], s[14:15], v[102:103]
	v_fma_f64 v[102:103], v[145:146], s[6:7], v[116:117]
	v_fma_f64 v[76:77], v[118:119], -0.5, v[74:75]
	v_fma_f64 v[72:73], v[147:148], s[4:5], v[72:73]
	v_add_f64 v[116:117], v[149:150], v[143:144]
	v_add_f64 v[74:75], v[70:71], v[74:75]
	v_fma_f64 v[118:119], v[56:57], s[16:17], v[92:93]
	v_add_f64 v[143:144], v[70:71], -v[78:79]
	v_add_f64 v[147:148], v[58:59], -v[66:67]
	v_fma_f64 v[88:89], v[90:91], s[10:11], v[88:89]
	v_fma_f64 v[149:150], v[64:65], s[4:5], v[76:77]
	v_add_f64 v[70:71], v[78:79], -v[70:71]
	v_add_f64 v[151:152], v[66:67], -v[58:59]
	v_add_f64 v[74:75], v[78:79], v[74:75]
	v_fma_f64 v[78:79], v[64:65], s[14:15], v[118:119]
	v_fma_f64 v[92:93], v[56:57], s[4:5], v[92:93]
	v_add_f64 v[118:119], v[147:148], v[143:144]
	v_fma_f64 v[76:77], v[64:65], s[16:17], v[76:77]
	v_fma_f64 v[72:73], v[145:146], s[14:15], v[72:73]
	;; [unrolled: 1-line block ×3, first 2 shown]
	v_add_f64 v[70:71], v[151:152], v[70:71]
	v_fma_f64 v[68:69], v[90:91], s[10:11], v[68:69]
	v_fma_f64 v[90:91], v[116:117], s[10:11], v[102:103]
	v_add_f64 v[66:67], v[66:67], v[74:75]
	v_fma_f64 v[64:65], v[64:65], s[6:7], v[92:93]
	v_fma_f64 v[74:75], v[118:119], s[10:11], v[78:79]
	v_mul_f64 v[78:79], v[88:89], s[18:19]
	v_fma_f64 v[56:57], v[56:57], s[6:7], v[76:77]
	v_fma_f64 v[72:73], v[116:117], s[10:11], v[72:73]
	;; [unrolled: 1-line block ×3, first 2 shown]
	v_mul_f64 v[92:93], v[90:91], s[10:11]
	v_add_f64 v[102:103], v[58:59], v[66:67]
	v_fma_f64 v[58:59], v[118:119], s[10:11], v[64:65]
	s_waitcnt vmcnt(1)
	v_add_f64 v[161:162], v[22:23], -v[38:39]
	v_fma_f64 v[118:119], v[74:75], s[6:7], v[78:79]
	v_mul_f64 v[78:79], v[88:89], s[14:15]
	v_mul_f64 v[88:89], v[90:91], s[16:17]
	v_fma_f64 v[64:65], v[70:71], s[10:11], v[56:57]
	v_mul_f64 v[70:71], v[68:69], s[18:19]
	v_mul_f64 v[66:67], v[72:73], s[10:11]
	v_add_f64 v[56:57], v[94:95], v[96:97]
	v_fma_f64 v[92:93], v[76:77], s[4:5], v[92:93]
	v_mul_f64 v[116:117], v[58:59], s[18:19]
	v_fma_f64 v[147:148], v[74:75], s[18:19], v[78:79]
	v_fma_f64 v[149:150], v[76:77], s[10:11], v[88:89]
	v_add_f64 v[88:89], v[32:33], v[28:29]
	v_fma_f64 v[145:146], v[58:59], s[6:7], -v[70:71]
	v_add_f64 v[70:71], v[96:97], -v[94:95]
	v_add_f64 v[96:97], v[20:21], v[24:25]
	v_mul_f64 v[90:91], v[64:65], s[10:11]
	v_fma_f64 v[143:144], v[64:65], s[4:5], -v[66:67]
	v_add_f64 v[58:59], v[100:101], v[118:119]
	v_add_f64 v[64:65], v[127:128], v[92:93]
	v_fma_f64 v[159:160], v[88:89], -0.5, v[24:25]
	v_fma_f64 v[157:158], v[68:69], s[14:15], -v[116:117]
	v_add_f64 v[68:69], v[125:126], v[145:146]
	v_add_f64 v[96:97], v[28:29], v[96:97]
	v_fma_f64 v[151:152], v[72:73], s[16:17], -v[90:91]
	v_add_f64 v[66:67], v[137:138], v[143:144]
	v_add_f64 v[72:73], v[102:103], v[139:140]
	v_add_f64 v[88:89], v[100:101], -v[118:119]
	v_add_f64 v[90:91], v[127:128], -v[92:93]
	;; [unrolled: 1-line block ×5, first 2 shown]
	v_add_f64 v[100:101], v[36:37], v[20:21]
	v_fma_f64 v[102:103], v[161:162], s[4:5], v[159:160]
	v_add_f64 v[125:126], v[30:31], -v[34:35]
	v_add_f64 v[127:128], v[20:21], -v[28:29]
	;; [unrolled: 1-line block ×3, first 2 shown]
	v_add_f64 v[96:97], v[32:33], v[96:97]
	v_add_f64 v[74:75], v[153:154], v[147:148]
	v_add_f64 v[137:138], v[153:154], -v[147:148]
	v_fma_f64 v[24:25], v[100:101], -0.5, v[24:25]
	v_add_f64 v[147:148], v[22:23], v[26:27]
	v_fma_f64 v[100:101], v[125:126], s[6:7], v[102:103]
	v_add_f64 v[76:77], v[98:99], v[149:150]
	v_add_f64 v[102:103], v[143:144], v[127:128]
	v_fma_f64 v[127:128], v[161:162], s[16:17], v[159:160]
	v_add_f64 v[139:140], v[98:99], -v[149:150]
	v_add_f64 v[96:97], v[36:37], v[96:97]
	v_add_f64 v[149:150], v[20:21], -v[36:37]
	v_add_f64 v[20:21], v[28:29], -v[20:21]
	;; [unrolled: 1-line block ×3, first 2 shown]
	v_add_f64 v[98:99], v[34:35], v[30:31]
	v_fma_f64 v[145:146], v[125:126], s[16:17], v[24:25]
	v_fma_f64 v[127:128], v[125:126], s[14:15], v[127:128]
	;; [unrolled: 1-line block ×3, first 2 shown]
	v_add_f64 v[125:126], v[30:31], v[147:148]
	v_fma_f64 v[100:101], v[102:103], s[10:11], v[100:101]
	v_add_f64 v[78:79], v[141:142], v[151:152]
	v_add_f64 v[20:21], v[36:37], v[20:21]
	;; [unrolled: 1-line block ×3, first 2 shown]
	v_fma_f64 v[98:99], v[98:99], -0.5, v[26:27]
	v_fma_f64 v[145:146], v[161:162], s[6:7], v[145:146]
	v_fma_f64 v[24:25], v[161:162], s[14:15], v[24:25]
	v_add_f64 v[125:126], v[34:35], v[125:126]
	v_fma_f64 v[102:103], v[102:103], s[10:11], v[127:128]
	v_add_f64 v[127:128], v[4:5], v[12:13]
	v_add_f64 v[141:142], v[141:142], -v[151:152]
	v_add_f64 v[28:29], v[28:29], -v[32:33]
	;; [unrolled: 1-line block ×4, first 2 shown]
	v_fma_f64 v[26:27], v[36:37], -0.5, v[26:27]
	v_fma_f64 v[147:148], v[149:150], s[16:17], v[98:99]
	v_fma_f64 v[145:146], v[20:21], s[10:11], v[145:146]
	;; [unrolled: 1-line block ×3, first 2 shown]
	v_add_f64 v[24:25], v[38:39], v[125:126]
	v_add_f64 v[36:37], v[8:9], v[16:17]
	v_fma_f64 v[125:126], v[127:128], -0.5, v[16:17]
	s_waitcnt vmcnt(0)
	v_add_f64 v[127:128], v[10:11], -v[2:3]
	v_fma_f64 v[98:99], v[149:150], s[4:5], v[98:99]
	v_add_f64 v[32:33], v[151:152], v[32:33]
	v_fma_f64 v[151:152], v[28:29], s[4:5], v[26:27]
	v_add_f64 v[22:23], v[30:31], -v[22:23]
	v_add_f64 v[30:31], v[34:35], -v[38:39]
	v_add_f64 v[116:117], v[155:156], v[157:158]
	v_add_f64 v[143:144], v[155:156], -v[157:158]
	v_fma_f64 v[147:148], v[28:29], s[14:15], v[147:148]
	v_fma_f64 v[26:27], v[28:29], s[16:17], v[26:27]
	v_add_f64 v[34:35], v[12:13], v[36:37]
	v_fma_f64 v[36:37], v[127:128], s[4:5], v[125:126]
	v_add_f64 v[38:39], v[14:15], -v[6:7]
	v_add_f64 v[153:154], v[8:9], -v[12:13]
	v_add_f64 v[155:156], v[0:1], -v[4:5]
	v_fma_f64 v[28:29], v[28:29], s[6:7], v[98:99]
	v_add_f64 v[98:99], v[0:1], v[8:9]
	v_fma_f64 v[151:152], v[149:150], s[14:15], v[151:152]
	v_add_f64 v[22:23], v[30:31], v[22:23]
	;; [unrolled: 2-line block ×4, first 2 shown]
	v_fma_f64 v[125:126], v[127:128], s[16:17], v[125:126]
	v_fma_f64 v[16:17], v[98:99], -0.5, v[16:17]
	v_fma_f64 v[98:99], v[32:33], s[10:11], v[28:29]
	v_add_f64 v[28:29], v[6:7], v[14:15]
	v_fma_f64 v[149:150], v[22:23], s[10:11], v[151:152]
	v_add_f64 v[151:152], v[2:3], v[10:11]
	v_fma_f64 v[147:148], v[32:33], s[10:11], v[147:148]
	v_fma_f64 v[22:23], v[22:23], s[10:11], v[26:27]
	v_add_f64 v[26:27], v[0:1], v[30:31]
	v_fma_f64 v[30:31], v[36:37], s[10:11], v[34:35]
	v_fma_f64 v[32:33], v[38:39], s[14:15], v[125:126]
	;; [unrolled: 1-line block ×3, first 2 shown]
	v_add_f64 v[125:126], v[12:13], -v[8:9]
	v_add_f64 v[153:154], v[4:5], -v[0:1]
	v_add_f64 v[155:156], v[10:11], v[18:19]
	v_fma_f64 v[28:29], v[28:29], -0.5, v[18:19]
	v_add_f64 v[0:1], v[8:9], -v[0:1]
	v_add_f64 v[4:5], v[12:13], -v[4:5]
	v_fma_f64 v[12:13], v[151:152], -0.5, v[18:19]
	v_fma_f64 v[16:17], v[38:39], s[4:5], v[16:17]
	v_fma_f64 v[8:9], v[36:37], s[10:11], v[32:33]
	;; [unrolled: 1-line block ×3, first 2 shown]
	v_add_f64 v[18:19], v[153:154], v[125:126]
	v_add_f64 v[34:35], v[14:15], v[155:156]
	v_fma_f64 v[36:37], v[0:1], s[16:17], v[28:29]
	v_add_f64 v[38:39], v[10:11], -v[14:15]
	v_add_f64 v[125:126], v[2:3], -v[6:7]
	v_fma_f64 v[28:29], v[0:1], s[4:5], v[28:29]
	v_fma_f64 v[151:152], v[4:5], s[4:5], v[12:13]
	v_add_f64 v[10:11], v[14:15], -v[10:11]
	v_add_f64 v[14:15], v[6:7], -v[2:3]
	v_fma_f64 v[12:13], v[4:5], s[16:17], v[12:13]
	v_fma_f64 v[16:17], v[127:128], s[14:15], v[16:17]
	v_add_f64 v[6:7], v[6:7], v[34:35]
	v_fma_f64 v[34:35], v[4:5], s[14:15], v[36:37]
	v_add_f64 v[36:37], v[125:126], v[38:39]
	v_fma_f64 v[4:5], v[4:5], s[6:7], v[28:29]
	v_fma_f64 v[28:29], v[0:1], s[14:15], v[151:152]
	v_add_f64 v[10:11], v[14:15], v[10:11]
	v_fma_f64 v[0:1], v[0:1], s[6:7], v[12:13]
	v_fma_f64 v[12:13], v[18:19], s[10:11], v[32:33]
	;; [unrolled: 1-line block ×3, first 2 shown]
	v_add_f64 v[38:39], v[2:3], v[6:7]
	v_fma_f64 v[6:7], v[36:37], s[10:11], v[34:35]
	v_fma_f64 v[4:5], v[36:37], s[10:11], v[4:5]
	v_mul_f64 v[2:3], v[30:31], s[18:19]
	v_fma_f64 v[16:17], v[10:11], s[10:11], v[28:29]
	v_fma_f64 v[10:11], v[10:11], s[10:11], v[0:1]
	v_mul_f64 v[18:19], v[12:13], s[10:11]
	v_mul_f64 v[28:29], v[14:15], s[10:11]
	;; [unrolled: 1-line block ×5, first 2 shown]
	v_fma_f64 v[125:126], v[6:7], s[6:7], v[2:3]
	v_mul_f64 v[12:13], v[12:13], s[16:17]
	v_mul_f64 v[34:35], v[10:11], s[10:11]
	v_fma_f64 v[18:19], v[16:17], s[4:5], v[18:19]
	v_fma_f64 v[127:128], v[10:11], s[4:5], -v[28:29]
	v_fma_f64 v[151:152], v[4:5], s[6:7], -v[32:33]
	v_add_f64 v[0:1], v[26:27], v[96:97]
	v_fma_f64 v[159:160], v[8:9], s[14:15], -v[36:37]
	v_add_f64 v[2:3], v[100:101], v[125:126]
	v_fma_f64 v[153:154], v[6:7], s[18:19], v[30:31]
	v_fma_f64 v[155:156], v[16:17], s[10:11], v[12:13]
	v_fma_f64 v[157:158], v[14:15], s[16:17], -v[34:35]
	v_add_f64 v[4:5], v[145:146], v[18:19]
	v_add_f64 v[6:7], v[20:21], v[127:128]
	;; [unrolled: 1-line block ×3, first 2 shown]
	v_add_f64 v[10:11], v[96:97], -v[26:27]
	v_add_f64 v[12:13], v[100:101], -v[125:126]
	;; [unrolled: 1-line block ×4, first 2 shown]
	v_mul_u32_u24_e32 v20, 10, v122
	v_add_f64 v[18:19], v[102:103], -v[151:152]
	v_lshl_add_u32 v96, v20, 3, 0
	v_mul_i32_i24_e32 v20, 10, v123
	v_lshl_add_u32 v129, v20, 3, 0
	v_mul_i32_i24_e32 v20, 10, v124
	s_movk_i32 s0, 0xffb8
	v_add_f64 v[36:37], v[98:99], v[159:160]
	v_add_f64 v[151:152], v[98:99], -v[159:160]
	v_lshl_add_u32 v99, v20, 3, 0
	v_mad_i32_i24 v126, v122, s0, v96
	v_add_f64 v[28:29], v[38:39], v[24:25]
	ds_write_b128 v96, v[80:83]
	ds_write_b128 v96, v[84:87] offset:16
	ds_write_b128 v96, v[104:107] offset:32
	;; [unrolled: 1-line block ×4, first 2 shown]
	ds_write_b128 v129, v[56:59]
	ds_write_b128 v129, v[64:67] offset:16
	ds_write_b128 v129, v[68:71] offset:32
	ds_write_b128 v129, v[88:91] offset:48
	ds_write_b128 v129, v[92:95] offset:64
	v_add_u32_e32 v87, 0x1c00, v126
	v_add_u32_e32 v88, 0x3c00, v126
	v_mad_i32_i24 v92, v123, s0, v129
	v_mad_i32_i24 v93, v124, s0, v99
	v_add_u32_e32 v98, 0x2400, v126
	v_add_u32_e32 v86, 0x4000, v126
	;; [unrolled: 1-line block ×6, first 2 shown]
	v_lshl_add_u32 v105, v133, 3, 0
	v_add_u32_e32 v102, 0x3800, v126
	v_add_u32_e32 v94, 0x5400, v126
	s_movk_i32 s0, 0xcd
	v_add_f64 v[30:31], v[147:148], v[153:154]
	v_add_f64 v[32:33], v[149:150], v[155:156]
	;; [unrolled: 1-line block ×3, first 2 shown]
	v_add_f64 v[38:39], v[24:25], -v[38:39]
	v_add_f64 v[145:146], v[147:148], -v[153:154]
	;; [unrolled: 1-line block ×4, first 2 shown]
	ds_write_b128 v99, v[0:3]
	ds_write_b128 v99, v[4:7] offset:16
	ds_write_b128 v99, v[8:11] offset:32
	;; [unrolled: 1-line block ×4, first 2 shown]
	s_waitcnt lgkmcnt(0)
	s_barrier
	ds_read2_b64 v[56:59], v87 offset0:104 offset1:204
	ds_read2_b64 v[64:67], v88 offset0:80 offset1:180
	;; [unrolled: 1-line block ×4, first 2 shown]
	v_lshl_add_u32 v125, v132, 3, 0
	v_lshl_add_u32 v95, v134, 3, 0
	ds_read2_b64 v[107:110], v89 offset0:120 offset1:220
	ds_read2_b64 v[111:114], v106 offset0:96 offset1:196
	v_lshl_add_u32 v97, v136, 3, 0
	ds_read_b64 v[24:25], v92
	ds_read_b64 v[22:23], v93
	;; [unrolled: 1-line block ×4, first 2 shown]
	v_lshl_add_u32 v127, v131, 3, 0
	ds_read2_b64 v[153:156], v90 offset0:64 offset1:164
	ds_read2_b64 v[157:160], v91 offset0:40 offset1:140
	v_lshl_add_u32 v225, v135, 3, 0
	ds_read_b64 v[12:13], v105
	ds_read_b64 v[10:11], v225
	ds_read2_b64 v[4:7], v102 offset0:8 offset1:108
	ds_read2_b64 v[0:3], v94 offset0:112 offset1:212
	v_lshl_add_u32 v128, v130, 3, 0
	ds_read_b64 v[26:27], v126
	ds_read_b64 v[20:21], v125
	;; [unrolled: 1-line block ×4, first 2 shown]
	s_waitcnt lgkmcnt(0)
	s_barrier
	ds_write_b128 v96, v[48:51]
	ds_write_b128 v96, v[44:47] offset:16
	ds_write_b128 v96, v[40:43] offset:32
	ds_write_b128 v96, v[60:63] offset:48
	ds_write_b128 v96, v[52:55] offset:64
	ds_write_b128 v129, v[72:75]
	ds_write_b128 v129, v[76:79] offset:16
	ds_write_b128 v129, v[116:119] offset:32
	ds_write_b128 v129, v[137:140] offset:48
	ds_write_b128 v129, v[141:144] offset:64
	;; [unrolled: 5-line block ×3, first 2 shown]
	v_mul_lo_u16_sdwa v28, v122, s0 dst_sel:DWORD dst_unused:UNUSED_PAD src0_sel:BYTE_0 src1_sel:DWORD
	v_lshrrev_b16_e32 v28, 11, v28
	v_mul_lo_u16_e32 v29, 10, v28
	v_sub_u16_e32 v29, v122, v29
	v_mov_b32_e32 v32, 5
	v_lshlrev_b32_sdwa v30, v32, v29 dst_sel:DWORD dst_unused:UNUSED_PAD src0_sel:DWORD src1_sel:BYTE_0
	s_waitcnt lgkmcnt(0)
	s_barrier
	global_load_dwordx4 v[42:45], v30, s[8:9] offset:16
	global_load_dwordx4 v[46:49], v30, s[8:9]
	v_mul_lo_u16_sdwa v30, v123, s0 dst_sel:DWORD dst_unused:UNUSED_PAD src0_sel:BYTE_0 src1_sel:DWORD
	v_lshrrev_b16_e32 v30, 11, v30
	v_mul_lo_u16_e32 v31, 10, v30
	v_sub_u16_e32 v31, v123, v31
	v_lshlrev_b32_sdwa v32, v32, v31 dst_sel:DWORD dst_unused:UNUSED_PAD src0_sel:DWORD src1_sel:BYTE_0
	s_mov_b32 s0, 0xcccd
	global_load_dwordx4 v[50:53], v32, s[8:9]
	global_load_dwordx4 v[60:63], v32, s[8:9] offset:16
	v_mul_u32_u24_sdwa v32, v124, s0 dst_sel:DWORD dst_unused:UNUSED_PAD src0_sel:WORD_0 src1_sel:DWORD
	v_lshrrev_b32_e32 v32, 19, v32
	v_mul_lo_u16_e32 v33, 10, v32
	v_sub_u16_e32 v33, v124, v33
	v_lshlrev_b32_e32 v34, 5, v33
	global_load_dwordx4 v[72:75], v34, s[8:9]
	global_load_dwordx4 v[76:79], v34, s[8:9] offset:16
	v_mul_u32_u24_sdwa v34, v132, s0 dst_sel:DWORD dst_unused:UNUSED_PAD src0_sel:WORD_0 src1_sel:DWORD
	v_lshrrev_b32_e32 v34, 19, v34
	v_mul_lo_u16_e32 v35, 10, v34
	v_sub_u16_e32 v35, v132, v35
	v_lshlrev_b32_e32 v36, 5, v35
	ds_read2_b64 v[115:118], v87 offset0:104 offset1:204
	ds_read2_b64 v[137:140], v88 offset0:80 offset1:180
	;; [unrolled: 1-line block ×3, first 2 shown]
	global_load_dwordx4 v[145:148], v36, s[8:9] offset:16
	global_load_dwordx4 v[149:152], v36, s[8:9]
	v_mul_u32_u24_sdwa v36, v134, s0 dst_sel:DWORD dst_unused:UNUSED_PAD src0_sel:WORD_0 src1_sel:DWORD
	v_lshrrev_b32_e32 v36, 19, v36
	v_mul_lo_u16_e32 v37, 10, v36
	v_sub_u16_e32 v37, v134, v37
	v_lshlrev_b32_e32 v38, 5, v37
	global_load_dwordx4 v[161:164], v38, s[8:9] offset:16
	global_load_dwordx4 v[165:168], v38, s[8:9]
	v_mul_u32_u24_sdwa v38, v136, s0 dst_sel:DWORD dst_unused:UNUSED_PAD src0_sel:WORD_0 src1_sel:DWORD
	v_lshrrev_b32_e32 v38, 19, v38
	v_mul_lo_u16_e32 v39, 10, v38
	v_sub_u16_e32 v39, v136, v39
	v_lshlrev_b32_e32 v40, 5, v39
	ds_read2_b64 v[169:172], v86 offset0:152 offset1:252
	ds_read2_b64 v[173:176], v89 offset0:120 offset1:220
	global_load_dwordx4 v[177:180], v40, s[8:9] offset:16
	global_load_dwordx4 v[181:184], v40, s[8:9]
	v_mul_u32_u24_sdwa v40, v131, s0 dst_sel:DWORD dst_unused:UNUSED_PAD src0_sel:WORD_0 src1_sel:DWORD
	v_lshrrev_b32_e32 v40, 19, v40
	v_mul_lo_u16_e32 v41, 10, v40
	v_sub_u16_e32 v41, v131, v41
	v_lshlrev_b32_e32 v54, 5, v41
	global_load_dwordx4 v[185:188], v54, s[8:9] offset:16
	global_load_dwordx4 v[189:192], v54, s[8:9]
	v_mul_u32_u24_sdwa v54, v133, s0 dst_sel:DWORD dst_unused:UNUSED_PAD src0_sel:WORD_0 src1_sel:DWORD
	v_lshrrev_b32_e32 v119, 19, v54
	v_mul_lo_u16_e32 v54, 10, v119
	v_sub_u16_e32 v239, v133, v54
	v_lshlrev_b32_e32 v54, 5, v239
	ds_read2_b64 v[193:196], v106 offset0:96 offset1:196
	global_load_dwordx4 v[131:134], v54, s[8:9] offset:16
	global_load_dwordx4 v[197:200], v54, s[8:9]
	v_mul_u32_u24_sdwa v54, v135, s0 dst_sel:DWORD dst_unused:UNUSED_PAD src0_sel:WORD_0 src1_sel:DWORD
	v_lshrrev_b32_e32 v240, 19, v54
	v_mul_lo_u16_e32 v54, 10, v240
	v_sub_u16_e32 v241, v135, v54
	v_lshlrev_b32_e32 v54, 5, v241
	global_load_dwordx4 v[201:204], v54, s[8:9] offset:16
	global_load_dwordx4 v[205:208], v54, s[8:9]
	ds_read_b64 v[54:55], v92
	ds_read_b64 v[84:85], v93
	;; [unrolled: 1-line block ×4, first 2 shown]
	ds_read2_b64 v[209:212], v90 offset0:64 offset1:164
	v_mul_u32_u24_sdwa v97, v130, s0 dst_sel:DWORD dst_unused:UNUSED_PAD src0_sel:WORD_0 src1_sel:DWORD
	v_lshrrev_b32_e32 v242, 19, v97
	v_mul_lo_u16_e32 v97, 10, v242
	v_sub_u16_e32 v243, v130, v97
	v_lshlrev_b32_e32 v97, 5, v243
	global_load_dwordx4 v[213:216], v97, s[8:9] offset:16
	global_load_dwordx4 v[217:220], v97, s[8:9]
	ds_read2_b64 v[221:224], v91 offset0:40 offset1:140
	ds_read_b64 v[235:236], v105
	ds_read_b64 v[237:238], v225
	ds_read2_b64 v[225:228], v102 offset0:8 offset1:108
	ds_read2_b64 v[229:232], v94 offset0:112 offset1:212
	s_mov_b32 s0, 0xe8584caa
	s_mov_b32 s1, 0x3febb67a
	;; [unrolled: 1-line block ×4, first 2 shown]
	s_waitcnt vmcnt(19) lgkmcnt(14)
	v_mul_f64 v[135:136], v[137:138], v[44:45]
	s_waitcnt vmcnt(18)
	v_mul_f64 v[103:104], v[115:116], v[48:49]
	v_mul_f64 v[48:49], v[56:57], v[48:49]
	;; [unrolled: 1-line block ×3, first 2 shown]
	s_waitcnt vmcnt(17)
	v_mul_f64 v[233:234], v[117:118], v[52:53]
	v_mul_f64 v[52:53], v[58:59], v[52:53]
	v_fma_f64 v[56:57], v[56:57], v[46:47], -v[103:104]
	v_fma_f64 v[46:47], v[115:116], v[46:47], v[48:49]
	v_fma_f64 v[48:49], v[64:65], v[42:43], -v[135:136]
	v_fma_f64 v[42:43], v[137:138], v[42:43], v[44:45]
	s_waitcnt vmcnt(15) lgkmcnt(13)
	v_mul_f64 v[64:65], v[141:142], v[74:75]
	v_mul_f64 v[74:75], v[68:69], v[74:75]
	v_fma_f64 v[44:45], v[58:59], v[50:51], -v[233:234]
	v_mul_f64 v[58:59], v[139:140], v[62:63]
	v_mul_f64 v[62:63], v[66:67], v[62:63]
	v_fma_f64 v[50:51], v[117:118], v[50:51], v[52:53]
	s_waitcnt vmcnt(14) lgkmcnt(12)
	v_mul_f64 v[52:53], v[169:170], v[78:79]
	ds_read_b64 v[103:104], v126
	ds_read_b64 v[115:116], v125
	;; [unrolled: 1-line block ×4, first 2 shown]
	s_waitcnt vmcnt(0) lgkmcnt(0)
	s_barrier
	v_fma_f64 v[58:59], v[66:67], v[60:61], -v[58:59]
	v_fma_f64 v[60:61], v[139:140], v[60:61], v[62:63]
	v_fma_f64 v[62:63], v[68:69], v[72:73], -v[64:65]
	v_fma_f64 v[66:67], v[141:142], v[72:73], v[74:75]
	v_mul_f64 v[68:69], v[143:144], v[151:152]
	v_mul_f64 v[72:73], v[70:71], v[151:152]
	;; [unrolled: 1-line block ×3, first 2 shown]
	v_fma_f64 v[52:53], v[80:81], v[76:77], -v[52:53]
	v_mul_f64 v[74:75], v[171:172], v[147:148]
	v_mul_f64 v[80:81], v[173:174], v[167:168]
	;; [unrolled: 1-line block ×4, first 2 shown]
	v_fma_f64 v[68:69], v[70:71], v[149:150], -v[68:69]
	v_fma_f64 v[70:71], v[143:144], v[149:150], v[72:73]
	v_mul_f64 v[72:73], v[193:194], v[163:164]
	v_fma_f64 v[64:65], v[169:170], v[76:77], v[64:65]
	v_mul_f64 v[76:77], v[107:108], v[167:168]
	v_fma_f64 v[74:75], v[82:83], v[145:146], -v[74:75]
	v_fma_f64 v[80:81], v[107:108], v[165:166], -v[80:81]
	v_mul_f64 v[82:83], v[111:112], v[163:164]
	v_mul_f64 v[107:108], v[175:176], v[183:184]
	;; [unrolled: 1-line block ×3, first 2 shown]
	v_fma_f64 v[72:73], v[111:112], v[161:162], -v[72:73]
	v_mul_f64 v[111:112], v[195:196], v[179:180]
	v_mul_f64 v[141:142], v[209:210], v[191:192]
	;; [unrolled: 1-line block ×3, first 2 shown]
	v_fma_f64 v[78:79], v[171:172], v[145:146], v[78:79]
	v_mul_f64 v[143:144], v[153:154], v[191:192]
	v_fma_f64 v[107:108], v[109:110], v[181:182], -v[107:108]
	v_fma_f64 v[109:110], v[175:176], v[181:182], v[117:118]
	v_mul_f64 v[117:118], v[221:222], v[187:188]
	v_fma_f64 v[111:112], v[113:114], v[177:178], -v[111:112]
	v_fma_f64 v[113:114], v[195:196], v[177:178], v[139:140]
	v_fma_f64 v[139:140], v[153:154], v[189:190], -v[141:142]
	v_mul_f64 v[145:146], v[211:212], v[199:200]
	v_mul_f64 v[133:134], v[159:160], v[133:134]
	;; [unrolled: 1-line block ×4, first 2 shown]
	v_fma_f64 v[149:150], v[159:160], v[131:132], -v[149:150]
	v_mul_f64 v[159:160], v[231:232], v[215:216]
	v_fma_f64 v[82:83], v[193:194], v[161:162], v[82:83]
	v_mul_f64 v[141:142], v[157:158], v[187:188]
	v_mul_f64 v[147:148], v[155:156], v[199:200]
	v_fma_f64 v[117:118], v[157:158], v[185:186], -v[117:118]
	v_fma_f64 v[145:146], v[155:156], v[197:198], -v[145:146]
	v_mul_f64 v[155:156], v[229:230], v[203:204]
	v_fma_f64 v[4:5], v[4:5], v[205:206], -v[151:152]
	v_fma_f64 v[151:152], v[225:226], v[205:206], v[153:154]
	v_mul_f64 v[153:154], v[227:228], v[219:220]
	v_add_f64 v[157:158], v[56:57], v[48:49]
	v_mul_f64 v[161:162], v[2:3], v[215:216]
	v_add_f64 v[163:164], v[26:27], v[56:57]
	v_fma_f64 v[2:3], v[2:3], v[213:214], -v[159:160]
	v_add_f64 v[159:160], v[46:47], v[42:43]
	v_fma_f64 v[76:77], v[173:174], v[165:166], v[76:77]
	v_fma_f64 v[130:131], v[223:224], v[131:132], v[133:134]
	v_mul_f64 v[132:133], v[0:1], v[203:204]
	v_fma_f64 v[0:1], v[0:1], v[201:202], -v[155:156]
	v_mul_f64 v[155:156], v[6:7], v[219:220]
	v_fma_f64 v[6:7], v[6:7], v[217:218], -v[153:154]
	v_fma_f64 v[26:27], v[157:158], -0.5, v[26:27]
	v_add_f64 v[153:154], v[46:47], -v[42:43]
	v_fma_f64 v[157:158], v[231:232], v[213:214], v[161:162]
	v_add_f64 v[161:162], v[163:164], v[48:49]
	v_add_f64 v[46:47], v[103:104], v[46:47]
	;; [unrolled: 1-line block ×3, first 2 shown]
	v_fma_f64 v[103:104], v[159:160], -0.5, v[103:104]
	v_add_f64 v[48:49], v[56:57], -v[48:49]
	v_add_f64 v[56:57], v[24:25], v[44:45]
	v_fma_f64 v[163:164], v[153:154], s[0:1], v[26:27]
	v_fma_f64 v[26:27], v[153:154], s[20:21], v[26:27]
	v_add_f64 v[44:45], v[44:45], -v[58:59]
	v_add_f64 v[153:154], v[46:47], v[42:43]
	v_add_f64 v[42:43], v[50:51], v[60:61]
	v_fma_f64 v[24:25], v[165:166], -0.5, v[24:25]
	v_add_f64 v[46:47], v[50:51], -v[60:61]
	v_fma_f64 v[159:160], v[48:49], s[20:21], v[103:104]
	v_fma_f64 v[103:104], v[48:49], s[0:1], v[103:104]
	v_add_f64 v[48:49], v[54:55], v[50:51]
	v_add_f64 v[50:51], v[56:57], v[58:59]
	;; [unrolled: 1-line block ×3, first 2 shown]
	v_fma_f64 v[42:43], v[42:43], -0.5, v[54:55]
	v_fma_f64 v[143:144], v[209:210], v[189:190], v[143:144]
	v_fma_f64 v[54:55], v[46:47], s[0:1], v[24:25]
	;; [unrolled: 1-line block ×3, first 2 shown]
	v_add_f64 v[46:47], v[22:23], v[62:63]
	v_add_f64 v[58:59], v[48:49], v[60:61]
	v_add_f64 v[48:49], v[66:67], v[64:65]
	v_fma_f64 v[22:23], v[56:57], -0.5, v[22:23]
	v_add_f64 v[56:57], v[66:67], -v[64:65]
	v_fma_f64 v[60:61], v[44:45], s[20:21], v[42:43]
	v_fma_f64 v[165:166], v[44:45], s[0:1], v[42:43]
	v_add_f64 v[42:43], v[84:85], v[66:67]
	v_add_f64 v[44:45], v[46:47], v[52:53]
	v_add_f64 v[46:47], v[68:69], v[74:75]
	v_fma_f64 v[48:49], v[48:49], -0.5, v[84:85]
	v_add_f64 v[52:53], v[62:63], -v[52:53]
	v_fma_f64 v[62:63], v[56:57], s[0:1], v[22:23]
	v_fma_f64 v[22:23], v[56:57], s[20:21], v[22:23]
	v_add_f64 v[56:57], v[20:21], v[68:69]
	v_add_f64 v[64:65], v[42:43], v[64:65]
	v_add_f64 v[42:43], v[70:71], v[78:79]
	v_fma_f64 v[20:21], v[46:47], -0.5, v[20:21]
	v_add_f64 v[46:47], v[70:71], -v[78:79]
	v_fma_f64 v[66:67], v[52:53], s[20:21], v[48:49]
	v_fma_f64 v[84:85], v[52:53], s[0:1], v[48:49]
	v_add_f64 v[48:49], v[115:116], v[70:71]
	v_add_f64 v[52:53], v[56:57], v[74:75]
	v_add_f64 v[56:57], v[80:81], v[72:73]
	v_fma_f64 v[42:43], v[42:43], -0.5, v[115:116]
	v_add_f64 v[68:69], v[68:69], -v[74:75]
	v_fma_f64 v[70:71], v[46:47], s[0:1], v[20:21]
	v_fma_f64 v[20:21], v[46:47], s[20:21], v[20:21]
	v_add_f64 v[46:47], v[18:19], v[80:81]
	v_add_f64 v[74:75], v[48:49], v[78:79]
	v_add_f64 v[48:49], v[76:77], v[82:83]
	v_fma_f64 v[18:19], v[56:57], -0.5, v[18:19]
	v_add_f64 v[56:57], v[76:77], -v[82:83]
	v_fma_f64 v[78:79], v[68:69], s[20:21], v[42:43]
	v_fma_f64 v[68:69], v[68:69], s[0:1], v[42:43]
	v_add_f64 v[42:43], v[95:96], v[76:77]
	v_add_f64 v[46:47], v[46:47], v[72:73]
	v_add_f64 v[76:77], v[107:108], v[111:112]
	v_fma_f64 v[48:49], v[48:49], -0.5, v[95:96]
	v_add_f64 v[72:73], v[80:81], -v[72:73]
	v_fma_f64 v[141:142], v[221:222], v[185:186], v[141:142]
	v_fma_f64 v[80:81], v[56:57], s[0:1], v[18:19]
	v_fma_f64 v[18:19], v[56:57], s[20:21], v[18:19]
	v_add_f64 v[56:57], v[16:17], v[107:108]
	v_add_f64 v[82:83], v[42:43], v[82:83]
	;; [unrolled: 1-line block ×3, first 2 shown]
	v_fma_f64 v[16:17], v[76:77], -0.5, v[16:17]
	v_add_f64 v[76:77], v[109:110], -v[113:114]
	v_fma_f64 v[96:97], v[72:73], s[20:21], v[48:49]
	v_fma_f64 v[72:73], v[72:73], s[0:1], v[48:49]
	v_add_f64 v[48:49], v[100:101], v[109:110]
	v_add_f64 v[109:110], v[139:140], v[117:118]
	;; [unrolled: 1-line block ×3, first 2 shown]
	v_fma_f64 v[42:43], v[42:43], -0.5, v[100:101]
	v_add_f64 v[100:101], v[107:108], -v[111:112]
	v_fma_f64 v[107:108], v[76:77], s[0:1], v[16:17]
	v_fma_f64 v[16:17], v[76:77], s[20:21], v[16:17]
	v_add_f64 v[76:77], v[14:15], v[139:140]
	v_add_f64 v[111:112], v[48:49], v[113:114]
	;; [unrolled: 1-line block ×3, first 2 shown]
	v_fma_f64 v[147:148], v[211:212], v[197:198], v[147:148]
	v_fma_f64 v[14:15], v[109:110], -0.5, v[14:15]
	v_add_f64 v[109:110], v[143:144], -v[141:142]
	v_add_f64 v[115:116], v[135:136], v[143:144]
	v_fma_f64 v[113:114], v[100:101], s[20:21], v[42:43]
	v_fma_f64 v[143:144], v[100:101], s[0:1], v[42:43]
	v_add_f64 v[42:43], v[76:77], v[117:118]
	v_add_f64 v[76:77], v[145:146], v[149:150]
	v_fma_f64 v[48:49], v[48:49], -0.5, v[135:136]
	v_add_f64 v[100:101], v[139:140], -v[117:118]
	v_fma_f64 v[132:133], v[229:230], v[201:202], v[132:133]
	v_fma_f64 v[117:118], v[109:110], s[0:1], v[14:15]
	;; [unrolled: 1-line block ×3, first 2 shown]
	v_add_f64 v[109:110], v[115:116], v[141:142]
	v_add_f64 v[115:116], v[147:148], v[130:131]
	;; [unrolled: 1-line block ×4, first 2 shown]
	v_fma_f64 v[12:13], v[76:77], -0.5, v[12:13]
	v_add_f64 v[76:77], v[147:148], -v[130:131]
	v_fma_f64 v[139:140], v[100:101], s[20:21], v[48:49]
	v_fma_f64 v[167:168], v[100:101], s[0:1], v[48:49]
	v_add_f64 v[48:49], v[235:236], v[147:148]
	v_fma_f64 v[155:156], v[227:228], v[217:218], v[155:156]
	v_fma_f64 v[100:101], v[115:116], -0.5, v[235:236]
	v_add_f64 v[115:116], v[145:146], -v[149:150]
	v_add_f64 v[147:148], v[10:11], v[4:5]
	v_fma_f64 v[10:11], v[141:142], -0.5, v[10:11]
	v_add_f64 v[141:142], v[151:152], -v[132:133]
	v_fma_f64 v[145:146], v[76:77], s[0:1], v[12:13]
	v_fma_f64 v[12:13], v[76:77], s[20:21], v[12:13]
	v_add_f64 v[130:131], v[48:49], v[130:131]
	v_add_f64 v[48:49], v[151:152], v[132:133]
	;; [unrolled: 1-line block ×4, first 2 shown]
	v_fma_f64 v[149:150], v[115:116], s[20:21], v[100:101]
	v_fma_f64 v[115:116], v[115:116], s[0:1], v[100:101]
	v_add_f64 v[100:101], v[147:148], v[0:1]
	v_fma_f64 v[147:148], v[141:142], s[0:1], v[10:11]
	v_fma_f64 v[10:11], v[141:142], s[20:21], v[10:11]
	v_add_f64 v[141:142], v[155:156], v[157:158]
	v_add_f64 v[151:152], v[237:238], v[151:152]
	v_fma_f64 v[48:49], v[48:49], -0.5, v[237:238]
	v_add_f64 v[0:1], v[4:5], -v[0:1]
	v_add_f64 v[4:5], v[8:9], v[6:7]
	v_fma_f64 v[8:9], v[76:77], -0.5, v[8:9]
	v_add_f64 v[76:77], v[155:156], -v[157:158]
	;; [unrolled: 3-line block ×3, first 2 shown]
	v_add_f64 v[132:133], v[151:152], v[132:133]
	v_fma_f64 v[141:142], v[0:1], s[20:21], v[48:49]
	v_fma_f64 v[151:152], v[0:1], s[0:1], v[48:49]
	v_add_f64 v[0:1], v[4:5], v[2:3]
	v_fma_f64 v[2:3], v[76:77], s[0:1], v[8:9]
	v_fma_f64 v[4:5], v[76:77], s[20:21], v[8:9]
	v_mov_b32_e32 v76, 3
	v_add_f64 v[155:156], v[155:156], v[157:158]
	v_fma_f64 v[157:158], v[6:7], s[20:21], v[136:137]
	v_fma_f64 v[136:137], v[6:7], s[0:1], v[136:137]
	v_mul_u32_u24_e32 v6, 0xf0, v28
	v_lshlrev_b32_sdwa v7, v76, v29 dst_sel:DWORD dst_unused:UNUSED_PAD src0_sel:DWORD src1_sel:BYTE_0
	v_add3_u32 v77, 0, v6, v7
	v_mul_u32_u24_e32 v6, 0xf0, v30
	v_lshlrev_b32_sdwa v7, v76, v31 dst_sel:DWORD dst_unused:UNUSED_PAD src0_sel:DWORD src1_sel:BYTE_0
	v_add3_u32 v105, 0, v6, v7
	v_mul_u32_u24_e32 v6, 0xf0, v32
	v_lshlrev_b32_e32 v7, 3, v33
	ds_write2_b64 v77, v[161:162], v[163:164] offset1:10
	ds_write_b64 v77, v[26:27] offset:160
	ds_write2_b64 v105, v[50:51], v[54:55] offset1:10
	ds_write_b64 v105, v[24:25] offset:160
	v_add3_u32 v54, 0, v6, v7
	v_mul_u32_u24_e32 v6, 0xf0, v34
	v_lshlrev_b32_e32 v7, 3, v35
	v_add3_u32 v55, 0, v6, v7
	v_mul_u32_u24_e32 v6, 0xf0, v36
	v_lshlrev_b32_e32 v7, 3, v37
	ds_write2_b64 v54, v[44:45], v[62:63] offset1:10
	ds_write_b64 v54, v[22:23] offset:160
	v_add3_u32 v62, 0, v6, v7
	v_mul_u32_u24_e32 v6, 0xf0, v38
	v_lshlrev_b32_e32 v7, 3, v39
	v_add3_u32 v63, 0, v6, v7
	v_mul_u32_u24_e32 v6, 0xf0, v40
	v_lshlrev_b32_e32 v7, 3, v41
	ds_write2_b64 v55, v[52:53], v[70:71] offset1:10
	ds_write_b64 v55, v[20:21] offset:160
	ds_write2_b64 v62, v[46:47], v[80:81] offset1:10
	ds_write_b64 v62, v[18:19] offset:160
	;; [unrolled: 2-line block ×3, first 2 shown]
	v_add3_u32 v56, 0, v6, v7
	v_mul_u32_u24_e32 v6, 0xf0, v119
	v_lshlrev_b32_e32 v7, 3, v239
	v_add3_u32 v57, 0, v6, v7
	v_mul_u32_u24_e32 v6, 0xf0, v240
	v_lshlrev_b32_e32 v7, 3, v241
	;; [unrolled: 3-line block ×3, first 2 shown]
	ds_write2_b64 v56, v[42:43], v[117:118] offset1:10
	ds_write_b64 v56, v[14:15] offset:160
	ds_write2_b64 v57, v[134:135], v[145:146] offset1:10
	ds_write_b64 v57, v[12:13] offset:160
	;; [unrolled: 2-line block ×3, first 2 shown]
	v_add3_u32 v71, 0, v6, v7
	v_add_u32_e32 v100, 0x800, v126
	v_add_u32_e32 v95, 0x1400, v126
	s_movk_i32 s0, 0x89
	ds_write2_b64 v71, v[0:1], v[2:3] offset1:10
	ds_write_b64 v71, v[4:5] offset:160
	s_waitcnt lgkmcnt(0)
	s_barrier
	ds_read_b64 v[52:53], v126
	ds_read_b64 v[214:215], v125
	;; [unrolled: 1-line block ×4, first 2 shown]
	ds_read2_b64 v[44:47], v98 offset0:48 offset1:148
	ds_read2_b64 v[16:19], v89 offset0:120 offset1:220
	;; [unrolled: 1-line block ×12, first 2 shown]
	ds_read_b64 v[50:51], v92
	ds_read_b64 v[48:49], v93
	s_waitcnt lgkmcnt(0)
	s_barrier
	ds_write2_b64 v77, v[153:154], v[159:160] offset1:10
	ds_write_b64 v77, v[103:104] offset:160
	ds_write2_b64 v105, v[58:59], v[60:61] offset1:10
	ds_write_b64 v105, v[165:166] offset:160
	;; [unrolled: 2-line block ×10, first 2 shown]
	v_mul_lo_u16_sdwa v54, v122, s0 dst_sel:DWORD dst_unused:UNUSED_PAD src0_sel:BYTE_0 src1_sel:DWORD
	v_lshrrev_b16_e32 v77, 12, v54
	v_mul_lo_u16_e32 v54, 30, v77
	v_sub_u16_e32 v96, v122, v54
	v_mov_b32_e32 v74, 9
	v_mul_u32_u24_sdwa v54, v96, v74 dst_sel:DWORD dst_unused:UNUSED_PAD src0_sel:BYTE_0 src1_sel:DWORD
	v_lshlrev_b32_e32 v75, 4, v54
	s_waitcnt lgkmcnt(0)
	s_barrier
	global_load_dwordx4 v[54:57], v75, s[8:9] offset:320
	global_load_dwordx4 v[58:61], v75, s[8:9] offset:336
	;; [unrolled: 1-line block ×9, first 2 shown]
	v_mul_lo_u16_sdwa v97, v123, s0 dst_sel:DWORD dst_unused:UNUSED_PAD src0_sel:BYTE_0 src1_sel:DWORD
	v_lshrrev_b16_e32 v97, 12, v97
	v_mul_lo_u16_e32 v75, 30, v97
	v_sub_u16_e32 v101, v123, v75
	v_mul_u32_u24_sdwa v74, v101, v74 dst_sel:DWORD dst_unused:UNUSED_PAD src0_sel:BYTE_0 src1_sel:DWORD
	v_lshlrev_b32_e32 v103, 4, v74
	global_load_dwordx4 v[115:118], v103, s[8:9] offset:320
	global_load_dwordx4 v[130:133], v103, s[8:9] offset:336
	;; [unrolled: 1-line block ×4, first 2 shown]
	ds_read_b64 v[230:231], v126
	ds_read_b64 v[74:75], v125
	;; [unrolled: 1-line block ×4, first 2 shown]
	ds_read2_b64 v[142:145], v98 offset0:48 offset1:148
	ds_read2_b64 v[146:149], v89 offset0:120 offset1:220
	global_load_dwordx4 v[150:153], v103, s[8:9] offset:384
	ds_read2_b64 v[154:157], v102 offset0:8 offset1:108
	global_load_dwordx4 v[158:161], v103, s[8:9] offset:416
	global_load_dwordx4 v[162:165], v103, s[8:9] offset:400
	ds_read2_b64 v[166:169], v88 offset0:80 offset1:180
	ds_read2_b64 v[170:173], v106 offset0:96 offset1:196
	;; [unrolled: 1-line block ×4, first 2 shown]
	global_load_dwordx4 v[182:185], v103, s[8:9] offset:432
	global_load_dwordx4 v[186:189], v103, s[8:9] offset:448
	s_mov_b32 s0, 0x8889
	v_mul_u32_u24_sdwa v103, v124, s0 dst_sel:DWORD dst_unused:UNUSED_PAD src0_sel:WORD_0 src1_sel:DWORD
	v_lshrrev_b32_e32 v103, 20, v103
	v_mul_lo_u16_e32 v104, 30, v103
	v_sub_u16_e32 v104, v124, v104
	v_mul_u32_u24_e32 v105, 9, v104
	v_lshlrev_b32_e32 v105, 4, v105
	global_load_dwordx4 v[190:193], v105, s[8:9] offset:336
	global_load_dwordx4 v[194:197], v105, s[8:9] offset:320
	ds_read2_b64 v[198:201], v95 offset0:60 offset1:160
	ds_read2_b64 v[202:205], v87 offset0:104 offset1:204
	ds_read2_b64 v[206:209], v90 offset0:64 offset1:164
	ds_read2_b64 v[210:213], v86 offset0:152 offset1:252
	s_waitcnt vmcnt(19) lgkmcnt(13)
	v_mul_f64 v[216:217], v[74:75], v[56:57]
	v_mul_f64 v[56:57], v[214:215], v[56:57]
	s_waitcnt vmcnt(18) lgkmcnt(12)
	v_mul_f64 v[238:239], v[232:233], v[60:61]
	v_mul_f64 v[60:61], v[226:227], v[60:61]
	;; [unrolled: 3-line block ×3, first 2 shown]
	s_waitcnt vmcnt(16) lgkmcnt(10)
	v_mul_f64 v[242:243], v[142:143], v[68:69]
	v_fma_f64 v[236:237], v[214:215], v[54:55], -v[216:217]
	global_load_dwordx4 v[214:217], v105, s[8:9] offset:368
	global_load_dwordx4 v[218:221], v105, s[8:9] offset:352
	v_fma_f64 v[244:245], v[74:75], v[54:55], v[56:57]
	global_load_dwordx4 v[54:57], v105, s[8:9] offset:400
	global_load_dwordx4 v[222:225], v105, s[8:9] offset:384
	v_fma_f64 v[226:227], v[226:227], v[58:59], -v[238:239]
	v_fma_f64 v[232:233], v[232:233], v[58:59], v[60:61]
	v_fma_f64 v[228:229], v[228:229], v[62:63], -v[240:241]
	v_fma_f64 v[234:235], v[234:235], v[62:63], v[64:65]
	global_load_dwordx4 v[58:61], v105, s[8:9] offset:432
	global_load_dwordx4 v[62:65], v105, s[8:9] offset:416
	v_fma_f64 v[238:239], v[44:45], v[66:67], -v[242:243]
	v_mul_f64 v[44:45], v[44:45], v[68:69]
	s_waitcnt vmcnt(21) lgkmcnt(9)
	v_mul_f64 v[68:69], v[148:149], v[72:73]
	v_mul_f64 v[72:73], v[18:19], v[72:73]
	s_waitcnt vmcnt(20) lgkmcnt(8)
	v_mul_f64 v[74:75], v[154:155], v[80:81]
	;; [unrolled: 3-line block ×3, first 2 shown]
	v_fma_f64 v[44:45], v[142:143], v[66:67], v[44:45]
	v_fma_f64 v[142:143], v[18:19], v[70:71], -v[68:69]
	global_load_dwordx4 v[66:69], v105, s[8:9] offset:448
	v_mul_f64 v[18:19], v[10:11], v[84:85]
	v_fma_f64 v[84:85], v[148:149], v[70:71], v[72:73]
	s_waitcnt vmcnt(19) lgkmcnt(6)
	v_mul_f64 v[70:71], v[170:171], v[109:110]
	s_waitcnt vmcnt(18) lgkmcnt(5)
	v_mul_f64 v[72:73], v[176:177], v[113:114]
	v_fma_f64 v[40:41], v[40:41], v[78:79], -v[74:75]
	v_fma_f64 v[78:79], v[154:155], v[78:79], v[80:81]
	v_fma_f64 v[80:81], v[10:11], v[82:83], -v[240:241]
	v_mul_f64 v[10:11], v[36:37], v[109:110]
	v_fma_f64 v[82:83], v[168:169], v[82:83], v[18:19]
	v_mul_f64 v[18:19], v[6:7], v[113:114]
	v_fma_f64 v[36:37], v[36:37], v[107:108], -v[70:71]
	s_waitcnt vmcnt(17) lgkmcnt(4)
	v_mul_f64 v[70:71], v[178:179], v[117:118]
	v_mul_f64 v[74:75], v[32:33], v[117:118]
	v_fma_f64 v[109:110], v[6:7], v[111:112], -v[72:73]
	s_waitcnt vmcnt(16) lgkmcnt(3)
	v_mul_f64 v[6:7], v[198:199], v[132:133]
	v_fma_f64 v[107:108], v[170:171], v[107:108], v[10:11]
	v_mul_f64 v[10:11], v[28:29], v[132:133]
	v_fma_f64 v[111:112], v[176:177], v[111:112], v[18:19]
	s_waitcnt vmcnt(15) lgkmcnt(2)
	v_mul_f64 v[18:19], v[202:203], v[136:137]
	v_fma_f64 v[113:114], v[32:33], v[115:116], -v[70:71]
	v_fma_f64 v[74:75], v[178:179], v[115:116], v[74:75]
	v_mul_f64 v[32:33], v[24:25], v[136:137]
	v_fma_f64 v[115:116], v[28:29], v[130:131], -v[6:7]
	s_waitcnt vmcnt(14)
	v_mul_f64 v[6:7], v[144:145], v[140:141]
	v_fma_f64 v[117:118], v[198:199], v[130:131], v[10:11]
	v_mul_f64 v[10:11], v[46:47], v[140:141]
	v_fma_f64 v[130:131], v[24:25], v[134:135], -v[18:19]
	s_waitcnt vmcnt(13) lgkmcnt(1)
	v_mul_f64 v[18:19], v[206:207], v[152:153]
	v_mul_f64 v[28:29], v[20:21], v[152:153]
	v_fma_f64 v[132:133], v[202:203], v[134:135], v[32:33]
	s_waitcnt vmcnt(11)
	v_mul_f64 v[32:33], v[156:157], v[164:165]
	v_fma_f64 v[134:135], v[46:47], v[138:139], -v[6:7]
	v_mul_f64 v[6:7], v[42:43], v[164:165]
	ds_read2_b64 v[70:73], v94 offset0:112 offset1:212
	v_fma_f64 v[138:139], v[144:145], v[138:139], v[10:11]
	v_fma_f64 v[140:141], v[20:21], v[150:151], -v[18:19]
	v_fma_f64 v[144:145], v[206:207], v[150:151], v[28:29]
	s_waitcnt lgkmcnt(1)
	v_mul_f64 v[10:11], v[210:211], v[160:161]
	v_fma_f64 v[148:149], v[42:43], v[162:163], -v[32:33]
	v_mul_f64 v[18:19], v[12:13], v[160:161]
	s_waitcnt vmcnt(10)
	v_mul_f64 v[20:21], v[172:173], v[184:185]
	v_mul_f64 v[28:29], v[38:39], v[184:185]
	s_waitcnt vmcnt(9) lgkmcnt(0)
	v_mul_f64 v[32:33], v[70:71], v[188:189]
	v_fma_f64 v[150:151], v[156:157], v[162:163], v[6:7]
	v_mul_f64 v[6:7], v[0:1], v[188:189]
	s_waitcnt vmcnt(7)
	v_mul_f64 v[42:43], v[180:181], v[196:197]
	v_fma_f64 v[152:153], v[12:13], v[158:159], -v[10:11]
	v_fma_f64 v[154:155], v[210:211], v[158:159], v[18:19]
	v_fma_f64 v[156:157], v[38:39], v[182:183], -v[20:21]
	v_fma_f64 v[158:159], v[172:173], v[182:183], v[28:29]
	v_fma_f64 v[160:161], v[0:1], v[186:187], -v[32:33]
	v_mul_f64 v[12:13], v[30:31], v[192:193]
	v_fma_f64 v[162:163], v[70:71], v[186:187], v[6:7]
	v_mul_f64 v[6:7], v[200:201], v[192:193]
	v_mul_f64 v[0:1], v[34:35], v[196:197]
	v_fma_f64 v[10:11], v[34:35], v[194:195], -v[42:43]
	v_add_f64 v[42:43], v[52:53], v[226:227]
	v_add_f64 v[46:47], v[238:239], v[40:41]
	v_add_f64 v[70:71], v[226:227], -v[238:239]
	s_waitcnt vmcnt(6)
	v_mul_f64 v[32:33], v[146:147], v[216:217]
	s_waitcnt vmcnt(5)
	v_mul_f64 v[18:19], v[204:205], v[220:221]
	v_mul_f64 v[28:29], v[26:27], v[220:221]
	s_waitcnt vmcnt(3)
	v_mul_f64 v[38:39], v[208:209], v[224:225]
	v_mul_f64 v[34:35], v[16:17], v[216:217]
	v_fma_f64 v[30:31], v[30:31], v[190:191], -v[6:7]
	v_fma_f64 v[20:21], v[200:201], v[190:191], v[12:13]
	v_add_f64 v[168:169], v[109:110], -v[80:81]
	v_add_f64 v[172:173], v[234:235], -v[84:85]
	v_fma_f64 v[12:13], v[26:27], v[218:219], -v[18:19]
	v_fma_f64 v[6:7], v[204:205], v[218:219], v[28:29]
	v_fma_f64 v[28:29], v[16:17], v[214:215], -v[32:33]
	v_mul_f64 v[18:19], v[22:23], v[224:225]
	v_fma_f64 v[16:17], v[22:23], v[222:223], -v[38:39]
	v_mul_f64 v[22:23], v[166:167], v[56:57]
	v_mul_f64 v[32:33], v[8:9], v[56:57]
	s_waitcnt vmcnt(1)
	v_mul_f64 v[56:57], v[14:15], v[64:65]
	v_fma_f64 v[26:27], v[146:147], v[214:215], v[34:35]
	v_mul_f64 v[38:39], v[212:213], v[64:65]
	v_mul_f64 v[64:65], v[174:175], v[60:61]
	v_add_f64 v[146:147], v[36:37], -v[40:41]
	v_fma_f64 v[0:1], v[180:181], v[194:195], v[0:1]
	v_fma_f64 v[34:35], v[8:9], v[54:55], -v[22:23]
	v_fma_f64 v[22:23], v[166:167], v[54:55], v[32:33]
	v_add_f64 v[32:33], v[42:43], v[238:239]
	v_fma_f64 v[42:43], v[46:47], -0.5, v[52:53]
	v_add_f64 v[46:47], v[232:233], -v[107:108]
	v_fma_f64 v[8:9], v[212:213], v[62:63], v[56:57]
	v_add_f64 v[56:57], v[226:227], v[36:37]
	v_fma_f64 v[14:15], v[14:15], v[62:63], -v[38:39]
	v_fma_f64 v[38:39], v[4:5], v[58:59], -v[64:65]
	v_mul_f64 v[4:5], v[4:5], v[60:61]
	s_waitcnt vmcnt(0)
	v_mul_f64 v[54:55], v[72:73], v[68:69]
	v_mul_f64 v[60:61], v[2:3], v[68:69]
	v_add_f64 v[62:63], v[32:33], v[40:41]
	v_fma_f64 v[64:65], v[46:47], s[4:5], v[42:43]
	v_add_f64 v[68:69], v[44:45], -v[78:79]
	v_fma_f64 v[52:53], v[56:57], -0.5, v[52:53]
	v_add_f64 v[56:57], v[44:45], v[78:79]
	v_fma_f64 v[32:33], v[174:175], v[58:59], v[4:5]
	v_fma_f64 v[4:5], v[2:3], v[66:67], -v[54:55]
	v_fma_f64 v[2:3], v[72:73], v[66:67], v[60:61]
	v_add_f64 v[54:55], v[62:63], v[36:37]
	v_add_f64 v[60:61], v[70:71], v[146:147]
	v_fma_f64 v[58:59], v[68:69], s[6:7], v[64:65]
	v_fma_f64 v[42:43], v[46:47], s[16:17], v[42:43]
	;; [unrolled: 1-line block ×3, first 2 shown]
	v_add_f64 v[64:65], v[238:239], -v[226:227]
	v_add_f64 v[66:67], v[40:41], -v[36:37]
	v_add_f64 v[70:71], v[230:231], v[232:233]
	v_fma_f64 v[52:53], v[68:69], s[4:5], v[52:53]
	v_fma_f64 v[56:57], v[56:57], -0.5, v[230:231]
	v_add_f64 v[36:37], v[226:227], -v[36:37]
	v_fma_f64 v[42:43], v[68:69], s[14:15], v[42:43]
	v_fma_f64 v[62:63], v[46:47], s[6:7], v[62:63]
	v_add_f64 v[72:73], v[232:233], -v[44:45]
	v_add_f64 v[64:65], v[64:65], v[66:67]
	v_add_f64 v[66:67], v[232:233], v[107:108]
	;; [unrolled: 1-line block ×3, first 2 shown]
	v_add_f64 v[146:147], v[107:108], -v[78:79]
	v_fma_f64 v[46:47], v[46:47], s[14:15], v[52:53]
	v_fma_f64 v[58:59], v[60:61], s[10:11], v[58:59]
	;; [unrolled: 1-line block ×3, first 2 shown]
	v_add_f64 v[40:41], v[238:239], -v[40:41]
	v_fma_f64 v[60:61], v[60:61], s[10:11], v[42:43]
	v_fma_f64 v[42:43], v[66:67], -0.5, v[230:231]
	v_fma_f64 v[164:165], v[64:65], s[10:11], v[62:63]
	v_add_f64 v[52:53], v[142:143], v[80:81]
	v_add_f64 v[62:63], v[68:69], v[78:79]
	;; [unrolled: 1-line block ×3, first 2 shown]
	v_fma_f64 v[72:73], v[64:65], s[10:11], v[46:47]
	v_fma_f64 v[46:47], v[36:37], s[4:5], v[56:57]
	v_add_f64 v[64:65], v[236:237], v[228:229]
	v_fma_f64 v[66:67], v[40:41], s[14:15], v[70:71]
	v_fma_f64 v[56:57], v[40:41], s[4:5], v[42:43]
	v_fma_f64 v[52:53], v[52:53], -0.5, v[236:237]
	v_add_f64 v[70:71], v[234:235], -v[111:112]
	v_add_f64 v[146:147], v[62:63], v[107:108]
	v_add_f64 v[44:45], v[44:45], -v[232:233]
	v_add_f64 v[62:63], v[78:79], -v[107:108]
	v_fma_f64 v[46:47], v[40:41], s[6:7], v[46:47]
	v_add_f64 v[64:65], v[64:65], v[142:143]
	v_fma_f64 v[166:167], v[68:69], s[10:11], v[66:67]
	v_fma_f64 v[56:57], v[36:37], s[14:15], v[56:57]
	;; [unrolled: 1-line block ×3, first 2 shown]
	v_add_f64 v[78:79], v[84:85], -v[82:83]
	v_add_f64 v[107:108], v[228:229], -v[142:143]
	v_add_f64 v[44:45], v[44:45], v[62:63]
	v_fma_f64 v[170:171], v[68:69], s[10:11], v[46:47]
	v_fma_f64 v[40:41], v[40:41], s[16:17], v[42:43]
	v_add_f64 v[42:43], v[228:229], v[109:110]
	v_add_f64 v[46:47], v[64:65], v[80:81]
	;; [unrolled: 1-line block ×3, first 2 shown]
	v_fma_f64 v[64:65], v[78:79], s[6:7], v[66:67]
	v_add_f64 v[66:67], v[107:108], v[168:169]
	v_fma_f64 v[107:108], v[44:45], s[10:11], v[56:57]
	v_add_f64 v[56:57], v[234:235], v[111:112]
	v_fma_f64 v[36:37], v[36:37], s[6:7], v[40:41]
	v_fma_f64 v[40:41], v[42:43], -0.5, v[236:237]
	v_add_f64 v[168:169], v[46:47], v[109:110]
	v_fma_f64 v[42:43], v[62:63], -0.5, v[244:245]
	v_add_f64 v[46:47], v[228:229], -v[109:110]
	v_fma_f64 v[62:63], v[66:67], s[10:11], v[64:65]
	v_add_f64 v[64:65], v[142:143], -v[80:81]
	v_fma_f64 v[56:57], v[56:57], -0.5, v[244:245]
	v_add_f64 v[142:143], v[142:143], -v[228:229]
	v_add_f64 v[80:81], v[80:81], -v[109:110]
	;; [unrolled: 1-line block ×3, first 2 shown]
	v_fma_f64 v[52:53], v[70:71], s[16:17], v[52:53]
	v_fma_f64 v[109:110], v[46:47], s[16:17], v[42:43]
	;; [unrolled: 1-line block ×6, first 2 shown]
	v_add_f64 v[80:81], v[142:143], v[80:81]
	v_add_f64 v[142:143], v[244:245], v[234:235]
	;; [unrolled: 1-line block ×3, first 2 shown]
	v_fma_f64 v[109:110], v[64:65], s[14:15], v[109:110]
	v_add_f64 v[178:179], v[84:85], -v[234:235]
	v_add_f64 v[180:181], v[82:83], -v[111:112]
	v_fma_f64 v[174:175], v[46:47], s[14:15], v[176:177]
	v_fma_f64 v[40:41], v[70:71], s[14:15], v[40:41]
	v_fma_f64 v[52:53], v[78:79], s[14:15], v[52:53]
	v_add_f64 v[78:79], v[142:143], v[84:85]
	v_fma_f64 v[42:43], v[46:47], s[4:5], v[42:43]
	v_fma_f64 v[46:47], v[46:47], s[6:7], v[56:57]
	v_fma_f64 v[56:57], v[172:173], s[10:11], v[109:110]
	v_add_f64 v[176:177], v[178:179], v[180:181]
	v_fma_f64 v[68:69], v[70:71], s[6:7], v[68:69]
	v_fma_f64 v[84:85], v[80:81], s[10:11], v[40:41]
	v_fma_f64 v[52:53], v[66:67], s[10:11], v[52:53]
	v_add_f64 v[40:41], v[78:79], v[82:83]
	v_fma_f64 v[42:43], v[64:65], s[6:7], v[42:43]
	v_fma_f64 v[82:83], v[44:45], s[10:11], v[36:37]
	v_mul_f64 v[66:67], v[56:57], s[6:7]
	v_fma_f64 v[70:71], v[176:177], s[10:11], v[174:175]
	v_fma_f64 v[64:65], v[80:81], s[10:11], v[68:69]
	;; [unrolled: 1-line block ×3, first 2 shown]
	v_mul_f64 v[78:79], v[84:85], s[10:11]
	v_add_f64 v[80:81], v[40:41], v[111:112]
	v_fma_f64 v[40:41], v[172:173], s[10:11], v[42:43]
	v_mul_f64 v[42:43], v[52:53], s[18:19]
	v_fma_f64 v[109:110], v[62:63], s[18:19], v[66:67]
	v_mul_f64 v[62:63], v[62:63], s[14:15]
	v_mul_f64 v[68:69], v[70:71], s[4:5]
	v_add_f64 v[36:37], v[54:55], v[168:169]
	v_add_f64 v[178:179], v[134:135], v[148:149]
	v_fma_f64 v[78:79], v[46:47], s[4:5], -v[78:79]
	v_mul_f64 v[66:67], v[40:41], s[18:19]
	v_fma_f64 v[142:143], v[40:41], s[6:7], -v[42:43]
	v_add_f64 v[40:41], v[58:59], v[109:110]
	v_fma_f64 v[172:173], v[56:57], s[18:19], v[62:63]
	v_add_f64 v[56:57], v[50:51], v[115:116]
	v_fma_f64 v[111:112], v[64:65], s[10:11], v[68:69]
	v_mul_f64 v[64:65], v[64:65], s[16:17]
	v_mul_f64 v[46:47], v[46:47], s[10:11]
	v_fma_f64 v[176:177], v[52:53], s[14:15], -v[66:67]
	v_add_f64 v[52:53], v[54:55], -v[168:169]
	v_add_f64 v[54:55], v[58:59], -v[109:110]
	v_fma_f64 v[168:169], v[178:179], -0.5, v[50:51]
	v_add_f64 v[109:110], v[56:57], v[134:135]
	v_add_f64 v[42:43], v[164:165], v[111:112]
	v_fma_f64 v[174:175], v[70:71], s[10:11], v[64:65]
	v_add_f64 v[178:179], v[117:118], -v[158:159]
	v_add_f64 v[58:59], v[164:165], -v[111:112]
	v_add_f64 v[111:112], v[115:116], v[156:157]
	v_add_f64 v[44:45], v[72:73], v[78:79]
	v_fma_f64 v[84:85], v[84:85], s[16:17], -v[46:47]
	v_add_f64 v[109:110], v[109:110], v[148:149]
	v_add_f64 v[46:47], v[60:61], v[142:143]
	;; [unrolled: 1-line block ×5, first 2 shown]
	v_add_f64 v[56:57], v[72:73], -v[78:79]
	v_add_f64 v[60:61], v[60:61], -v[142:143]
	;; [unrolled: 1-line block ×4, first 2 shown]
	v_fma_f64 v[142:143], v[178:179], s[4:5], v[168:169]
	v_add_f64 v[146:147], v[138:139], -v[150:151]
	v_add_f64 v[164:165], v[115:116], -v[134:135]
	;; [unrolled: 1-line block ×4, first 2 shown]
	v_fma_f64 v[50:51], v[111:112], -0.5, v[50:51]
	v_add_f64 v[107:108], v[109:110], v[156:157]
	v_add_f64 v[109:110], v[138:139], v[150:151]
	ds_read_b64 v[136:137], v92
	ds_read_b64 v[24:25], v93
	v_add_f64 v[68:69], v[82:83], v[84:85]
	v_add_f64 v[70:71], v[170:171], v[176:177]
	v_add_f64 v[82:83], v[82:83], -v[84:85]
	v_add_f64 v[84:85], v[170:171], -v[176:177]
	v_fma_f64 v[111:112], v[146:147], s[6:7], v[142:143]
	v_add_f64 v[142:143], v[164:165], v[166:167]
	v_fma_f64 v[164:165], v[178:179], s[16:17], v[168:169]
	v_fma_f64 v[166:167], v[146:147], s[16:17], v[50:51]
	v_add_f64 v[168:169], v[134:135], -v[115:116]
	v_add_f64 v[170:171], v[148:149], -v[156:157]
	s_waitcnt lgkmcnt(1)
	v_add_f64 v[172:173], v[136:137], v[117:118]
	v_fma_f64 v[109:110], v[109:110], -0.5, v[136:137]
	v_add_f64 v[115:116], v[115:116], -v[156:157]
	v_fma_f64 v[50:51], v[146:147], s[4:5], v[50:51]
	v_fma_f64 v[156:157], v[146:147], s[14:15], v[164:165]
	;; [unrolled: 1-line block ×3, first 2 shown]
	v_add_f64 v[166:167], v[117:118], v[158:159]
	v_add_f64 v[146:147], v[168:169], v[170:171]
	;; [unrolled: 1-line block ×3, first 2 shown]
	v_add_f64 v[134:135], v[134:135], -v[148:149]
	v_fma_f64 v[170:171], v[115:116], s[16:17], v[109:110]
	v_fma_f64 v[111:112], v[142:143], s[10:11], v[111:112]
	v_add_f64 v[148:149], v[117:118], -v[138:139]
	v_add_f64 v[172:173], v[158:159], -v[150:151]
	v_fma_f64 v[142:143], v[142:143], s[10:11], v[156:157]
	v_fma_f64 v[136:137], v[166:167], -0.5, v[136:137]
	v_fma_f64 v[156:157], v[146:147], s[10:11], v[164:165]
	v_add_f64 v[164:165], v[140:141], v[152:153]
	v_add_f64 v[166:167], v[168:169], v[150:151]
	v_fma_f64 v[168:169], v[134:135], s[14:15], v[170:171]
	v_fma_f64 v[109:110], v[115:116], s[4:5], v[109:110]
	v_add_f64 v[170:171], v[113:114], v[130:131]
	v_fma_f64 v[50:51], v[178:179], s[14:15], v[50:51]
	v_add_f64 v[148:149], v[148:149], v[172:173]
	v_add_f64 v[172:173], v[132:133], -v[162:163]
	v_fma_f64 v[164:165], v[164:165], -0.5, v[113:114]
	v_add_f64 v[117:118], v[138:139], -v[117:118]
	v_add_f64 v[138:139], v[150:151], -v[158:159]
	v_fma_f64 v[109:110], v[134:135], s[6:7], v[109:110]
	v_add_f64 v[150:151], v[170:171], v[140:141]
	v_fma_f64 v[50:51], v[146:147], s[10:11], v[50:51]
	v_fma_f64 v[146:147], v[134:135], s[4:5], v[136:137]
	v_add_f64 v[166:167], v[166:167], v[158:159]
	v_fma_f64 v[168:169], v[148:149], s[10:11], v[168:169]
	v_fma_f64 v[158:159], v[172:173], s[4:5], v[164:165]
	v_add_f64 v[170:171], v[144:145], -v[154:155]
	v_add_f64 v[174:175], v[130:131], -v[140:141]
	;; [unrolled: 1-line block ×3, first 2 shown]
	v_add_f64 v[117:118], v[117:118], v[138:139]
	v_fma_f64 v[109:110], v[148:149], s[10:11], v[109:110]
	v_fma_f64 v[134:135], v[134:135], s[16:17], v[136:137]
	v_add_f64 v[136:137], v[130:131], v[160:161]
	v_add_f64 v[138:139], v[150:151], v[152:153]
	;; [unrolled: 1-line block ×3, first 2 shown]
	v_fma_f64 v[146:147], v[115:116], s[14:15], v[146:147]
	v_fma_f64 v[150:151], v[170:171], s[6:7], v[158:159]
	v_add_f64 v[158:159], v[174:175], v[176:177]
	v_add_f64 v[174:175], v[132:133], v[162:163]
	v_fma_f64 v[115:116], v[115:116], s[6:7], v[134:135]
	v_fma_f64 v[113:114], v[136:137], -0.5, v[113:114]
	v_add_f64 v[134:135], v[138:139], v[160:161]
	v_fma_f64 v[136:137], v[148:149], -0.5, v[74:75]
	v_add_f64 v[138:139], v[130:131], -v[160:161]
	v_add_f64 v[130:131], v[140:141], -v[130:131]
	v_fma_f64 v[148:149], v[158:159], s[10:11], v[150:151]
	v_add_f64 v[150:151], v[140:141], -v[152:153]
	v_fma_f64 v[174:175], v[174:175], -0.5, v[74:75]
	v_fma_f64 v[176:177], v[170:171], s[16:17], v[113:114]
	v_add_f64 v[140:141], v[152:153], -v[160:161]
	v_fma_f64 v[113:114], v[170:171], s[4:5], v[113:114]
	v_fma_f64 v[152:153], v[138:139], s[16:17], v[136:137]
	;; [unrolled: 1-line block ×3, first 2 shown]
	v_add_f64 v[160:161], v[132:133], -v[144:145]
	v_add_f64 v[178:179], v[162:163], -v[154:155]
	v_fma_f64 v[180:181], v[150:151], s[4:5], v[174:175]
	v_add_f64 v[182:183], v[144:145], -v[132:133]
	v_add_f64 v[184:185], v[154:155], -v[162:163]
	v_add_f64 v[130:131], v[130:131], v[140:141]
	v_add_f64 v[74:75], v[74:75], v[132:133]
	v_fma_f64 v[132:133], v[150:151], s[14:15], v[152:153]
	v_fma_f64 v[152:153], v[150:151], s[16:17], v[174:175]
	;; [unrolled: 1-line block ×4, first 2 shown]
	v_add_f64 v[140:141], v[160:161], v[178:179]
	v_fma_f64 v[160:161], v[138:139], s[14:15], v[180:181]
	v_add_f64 v[174:175], v[182:183], v[184:185]
	v_fma_f64 v[164:165], v[170:171], s[14:15], v[164:165]
	;; [unrolled: 2-line block ×3, first 2 shown]
	v_fma_f64 v[113:114], v[130:131], s[10:11], v[113:114]
	v_fma_f64 v[136:137], v[150:151], s[6:7], v[136:137]
	;; [unrolled: 1-line block ×7, first 2 shown]
	v_add_f64 v[74:75], v[74:75], v[154:155]
	v_fma_f64 v[138:139], v[174:175], s[10:11], v[138:139]
	v_mul_f64 v[154:155], v[113:114], s[10:11]
	v_fma_f64 v[115:116], v[117:118], s[10:11], v[115:116]
	v_fma_f64 v[117:118], v[140:141], s[10:11], v[136:137]
	;; [unrolled: 1-line block ×3, first 2 shown]
	v_mul_f64 v[144:145], v[132:133], s[6:7]
	v_mul_f64 v[150:151], v[152:153], s[4:5]
	;; [unrolled: 1-line block ×3, first 2 shown]
	v_add_f64 v[74:75], v[74:75], v[162:163]
	v_fma_f64 v[154:155], v[138:139], s[4:5], -v[154:155]
	v_mul_f64 v[138:139], v[138:139], s[10:11]
	v_mul_f64 v[160:161], v[117:118], s[18:19]
	v_add_f64 v[136:137], v[107:108], v[134:135]
	v_fma_f64 v[144:145], v[148:149], s[18:19], v[144:145]
	v_fma_f64 v[150:151], v[130:131], s[10:11], v[150:151]
	v_mul_f64 v[148:149], v[148:149], s[14:15]
	v_mul_f64 v[130:131], v[130:131], s[16:17]
	v_fma_f64 v[117:118], v[117:118], s[6:7], -v[140:141]
	v_fma_f64 v[113:114], v[113:114], s[16:17], -v[138:139]
	;; [unrolled: 1-line block ×3, first 2 shown]
	v_add_f64 v[158:159], v[48:49], v[30:31]
	v_add_f64 v[160:161], v[28:29], v[34:35]
	;; [unrolled: 1-line block ×3, first 2 shown]
	v_fma_f64 v[132:133], v[132:133], s[18:19], v[148:149]
	v_fma_f64 v[130:131], v[152:153], s[10:11], v[130:131]
	v_add_f64 v[148:149], v[142:143], v[117:118]
	v_add_f64 v[152:153], v[166:167], v[74:75]
	v_add_f64 v[107:108], v[107:108], -v[134:135]
	v_add_f64 v[111:112], v[111:112], -v[144:145]
	v_add_f64 v[134:135], v[158:159], v[28:29]
	v_fma_f64 v[144:145], v[160:161], -0.5, v[48:49]
	v_add_f64 v[158:159], v[20:21], -v[32:33]
	v_add_f64 v[117:118], v[142:143], -v[117:118]
	;; [unrolled: 1-line block ×3, first 2 shown]
	v_add_f64 v[74:75], v[30:31], v[38:39]
	v_add_f64 v[162:163], v[156:157], v[150:151]
	;; [unrolled: 1-line block ×3, first 2 shown]
	v_add_f64 v[150:151], v[156:157], -v[150:151]
	v_add_f64 v[50:51], v[50:51], -v[154:155]
	v_add_f64 v[134:135], v[134:135], v[34:35]
	v_fma_f64 v[154:155], v[158:159], s[4:5], v[144:145]
	v_add_f64 v[156:157], v[26:27], -v[22:23]
	v_add_f64 v[160:161], v[30:31], -v[28:29]
	;; [unrolled: 1-line block ×3, first 2 shown]
	v_fma_f64 v[48:49], v[74:75], -0.5, v[48:49]
	v_add_f64 v[172:173], v[146:147], v[130:131]
	v_add_f64 v[174:175], v[115:116], v[113:114]
	v_add_f64 v[176:177], v[109:110], v[138:139]
	v_add_f64 v[130:131], v[146:147], -v[130:131]
	v_add_f64 v[146:147], v[115:116], -v[113:114]
	;; [unrolled: 1-line block ×3, first 2 shown]
	v_add_f64 v[74:75], v[134:135], v[38:39]
	v_fma_f64 v[109:110], v[156:157], s[6:7], v[154:155]
	v_add_f64 v[115:116], v[160:161], v[166:167]
	v_fma_f64 v[134:135], v[158:159], s[16:17], v[144:145]
	v_fma_f64 v[144:145], v[156:157], s[16:17], v[48:49]
	v_add_f64 v[154:155], v[28:29], -v[30:31]
	v_add_f64 v[160:161], v[34:35], -v[38:39]
	v_add_f64 v[113:114], v[26:27], v[22:23]
	v_fma_f64 v[48:49], v[156:157], s[4:5], v[48:49]
	s_waitcnt lgkmcnt(0)
	v_add_f64 v[166:167], v[24:25], v[20:21]
	v_add_f64 v[30:31], v[30:31], -v[38:39]
	v_fma_f64 v[38:39], v[115:116], s[10:11], v[109:110]
	v_fma_f64 v[109:110], v[156:157], s[14:15], v[134:135]
	;; [unrolled: 1-line block ×3, first 2 shown]
	v_add_f64 v[144:145], v[154:155], v[160:161]
	v_add_f64 v[154:155], v[20:21], v[32:33]
	v_fma_f64 v[113:114], v[113:114], -0.5, v[24:25]
	v_fma_f64 v[48:49], v[158:159], s[14:15], v[48:49]
	v_add_f64 v[156:157], v[166:167], v[26:27]
	v_add_f64 v[28:29], v[28:29], -v[34:35]
	v_add_f64 v[34:35], v[20:21], -v[26:27]
	;; [unrolled: 1-line block ×3, first 2 shown]
	v_add_f64 v[26:27], v[10:11], v[12:13]
	v_fma_f64 v[24:25], v[154:155], -0.5, v[24:25]
	v_fma_f64 v[158:159], v[30:31], s[16:17], v[113:114]
	v_add_f64 v[160:161], v[32:33], -v[22:23]
	v_fma_f64 v[113:114], v[30:31], s[4:5], v[113:114]
	v_fma_f64 v[109:110], v[115:116], s[10:11], v[109:110]
	;; [unrolled: 1-line block ×4, first 2 shown]
	v_add_f64 v[134:135], v[156:157], v[22:23]
	v_add_f64 v[144:145], v[16:17], v[14:15]
	v_fma_f64 v[156:157], v[28:29], s[4:5], v[24:25]
	v_add_f64 v[22:23], v[22:23], -v[32:33]
	v_fma_f64 v[24:25], v[28:29], s[16:17], v[24:25]
	v_add_f64 v[26:27], v[26:27], v[16:17]
	v_fma_f64 v[18:19], v[208:209], v[222:223], v[18:19]
	v_fma_f64 v[154:155], v[28:29], s[14:15], v[158:159]
	v_add_f64 v[34:35], v[34:35], v[160:161]
	v_fma_f64 v[113:114], v[28:29], s[6:7], v[113:114]
	v_fma_f64 v[144:145], v[144:145], -0.5, v[10:11]
	v_add_f64 v[158:159], v[6:7], -v[2:3]
	v_fma_f64 v[28:29], v[30:31], s[14:15], v[156:157]
	v_add_f64 v[20:21], v[20:21], v[22:23]
	v_fma_f64 v[24:25], v[30:31], s[6:7], v[24:25]
	v_add_f64 v[26:27], v[26:27], v[14:15]
	v_add_f64 v[32:33], v[134:135], v[32:33]
	v_fma_f64 v[134:135], v[34:35], s[10:11], v[154:155]
	v_fma_f64 v[30:31], v[34:35], s[10:11], v[113:114]
	v_add_f64 v[34:35], v[12:13], v[4:5]
	v_add_f64 v[113:114], v[18:19], v[8:9]
	v_fma_f64 v[22:23], v[158:159], s[4:5], v[144:145]
	v_fma_f64 v[28:29], v[20:21], s[10:11], v[28:29]
	;; [unrolled: 1-line block ×3, first 2 shown]
	v_add_f64 v[24:25], v[26:27], v[4:5]
	v_fma_f64 v[26:27], v[158:159], s[16:17], v[144:145]
	v_add_f64 v[144:145], v[6:7], v[2:3]
	v_add_f64 v[156:157], v[12:13], -v[16:17]
	v_add_f64 v[160:161], v[4:5], -v[14:15]
	v_fma_f64 v[10:11], v[34:35], -0.5, v[10:11]
	v_fma_f64 v[34:35], v[113:114], -0.5, v[0:1]
	v_add_f64 v[113:114], v[12:13], -v[4:5]
	v_add_f64 v[154:155], v[18:19], -v[8:9]
	;; [unrolled: 1-line block ×5, first 2 shown]
	v_fma_f64 v[16:17], v[144:145], -0.5, v[0:1]
	v_add_f64 v[170:171], v[168:169], v[132:133]
	v_add_f64 v[132:133], v[168:169], -v[132:133]
	v_add_f64 v[156:157], v[156:157], v[160:161]
	v_fma_f64 v[160:161], v[113:114], s[16:17], v[34:35]
	v_add_f64 v[166:167], v[6:7], -v[18:19]
	v_add_f64 v[168:169], v[2:3], -v[8:9]
	v_fma_f64 v[144:145], v[154:155], s[16:17], v[10:11]
	v_add_f64 v[0:1], v[0:1], v[6:7]
	v_add_f64 v[4:5], v[12:13], v[4:5]
	v_fma_f64 v[12:13], v[14:15], s[4:5], v[16:17]
	v_add_f64 v[6:7], v[18:19], -v[6:7]
	v_add_f64 v[178:179], v[8:9], -v[2:3]
	v_fma_f64 v[10:11], v[154:155], s[4:5], v[10:11]
	v_fma_f64 v[22:23], v[154:155], s[6:7], v[22:23]
	;; [unrolled: 1-line block ×4, first 2 shown]
	v_add_f64 v[160:161], v[166:167], v[168:169]
	v_add_f64 v[0:1], v[0:1], v[18:19]
	v_fma_f64 v[18:19], v[113:114], s[4:5], v[34:35]
	v_fma_f64 v[16:17], v[14:15], s[16:17], v[16:17]
	v_fma_f64 v[12:13], v[113:114], s[14:15], v[12:13]
	v_add_f64 v[6:7], v[6:7], v[178:179]
	v_fma_f64 v[10:11], v[158:159], s[14:15], v[10:11]
	v_fma_f64 v[34:35], v[158:159], s[6:7], v[144:145]
	v_fma_f64 v[144:145], v[160:161], s[10:11], v[154:155]
	;; [unrolled: 4-line block ×3, first 2 shown]
	v_fma_f64 v[12:13], v[6:7], s[10:11], v[12:13]
	v_fma_f64 v[10:11], v[4:5], s[10:11], v[10:11]
	;; [unrolled: 1-line block ×3, first 2 shown]
	v_mul_f64 v[18:19], v[144:145], s[6:7]
	v_fma_f64 v[4:5], v[4:5], s[10:11], v[34:35]
	v_add_f64 v[0:1], v[0:1], v[2:3]
	v_fma_f64 v[2:3], v[160:161], s[10:11], v[8:9]
	v_fma_f64 v[6:7], v[6:7], s[10:11], v[14:15]
	v_mul_f64 v[14:15], v[12:13], s[4:5]
	v_mul_f64 v[26:27], v[10:11], s[10:11]
	;; [unrolled: 1-line block ×3, first 2 shown]
	v_fma_f64 v[18:19], v[22:23], s[18:19], v[18:19]
	v_mul_f64 v[22:23], v[22:23], s[14:15]
	v_mul_f64 v[113:114], v[4:5], s[16:17]
	;; [unrolled: 1-line block ×4, first 2 shown]
	v_fma_f64 v[4:5], v[4:5], s[10:11], v[14:15]
	v_fma_f64 v[6:7], v[6:7], s[4:5], -v[26:27]
	v_fma_f64 v[2:3], v[2:3], s[6:7], -v[34:35]
	v_add_f64 v[8:9], v[74:75], v[24:25]
	v_add_f64 v[14:15], v[38:39], v[18:19]
	v_fma_f64 v[22:23], v[144:145], s[18:19], v[22:23]
	v_fma_f64 v[12:13], v[12:13], s[10:11], v[113:114]
	v_fma_f64 v[10:11], v[10:11], s[16:17], -v[154:155]
	v_fma_f64 v[16:17], v[16:17], s[14:15], -v[156:157]
	v_add_f64 v[26:27], v[115:116], v[4:5]
	v_add_f64 v[34:35], v[48:49], v[6:7]
	;; [unrolled: 1-line block ×3, first 2 shown]
	v_add_f64 v[6:7], v[48:49], -v[6:7]
	v_add_f64 v[2:3], v[109:110], -v[2:3]
	;; [unrolled: 1-line block ×5, first 2 shown]
	v_add_f64 v[144:145], v[32:33], v[0:1]
	v_add_f64 v[32:33], v[32:33], -v[0:1]
	v_mul_u32_u24_e32 v0, 0x960, v77
	v_lshlrev_b32_sdwa v1, v76, v96 dst_sel:DWORD dst_unused:UNUSED_PAD src0_sel:DWORD src1_sel:BYTE_0
	v_add3_u32 v96, 0, v0, v1
	v_mul_u32_u24_e32 v0, 0x960, v97
	v_lshlrev_b32_sdwa v1, v76, v101 dst_sel:DWORD dst_unused:UNUSED_PAD src0_sel:DWORD src1_sel:BYTE_0
	v_add3_u32 v97, 0, v0, v1
	v_mul_u32_u24_e32 v0, 0x960, v103
	v_lshlrev_b32_e32 v1, 3, v104
	v_add_u32_e32 v105, 0x400, v96
	v_add_u32_e32 v101, 0x400, v97
	v_add3_u32 v103, 0, v0, v1
	s_barrier
	ds_write2_b64 v96, v[36:37], v[40:41] offset1:30
	ds_write2_b64 v96, v[42:43], v[44:45] offset0:60 offset1:90
	ds_write2_b64 v96, v[46:47], v[52:53] offset0:120 offset1:150
	;; [unrolled: 1-line block ×4, first 2 shown]
	ds_write2_b64 v97, v[136:137], v[140:141] offset1:30
	ds_write2_b64 v97, v[162:163], v[164:165] offset0:60 offset1:90
	ds_write2_b64 v97, v[148:149], v[107:108] offset0:120 offset1:150
	;; [unrolled: 1-line block ×4, first 2 shown]
	ds_write2_b64 v103, v[8:9], v[14:15] offset1:30
	ds_write2_b64 v103, v[26:27], v[34:35] offset0:60 offset1:90
	ds_write2_b64 v103, v[113:114], v[24:25] offset0:120 offset1:150
	;; [unrolled: 1-line block ×3, first 2 shown]
	v_add_u32_e32 v4, 0x400, v103
	v_add_f64 v[154:155], v[134:135], v[22:23]
	v_add_f64 v[156:157], v[28:29], v[12:13]
	;; [unrolled: 1-line block ×4, first 2 shown]
	v_add_f64 v[134:135], v[134:135], -v[22:23]
	v_add_f64 v[12:13], v[28:29], -v[12:13]
	;; [unrolled: 1-line block ×4, first 2 shown]
	ds_write2_b64 v4, v[6:7], v[2:3] offset0:112 offset1:142
	s_waitcnt lgkmcnt(0)
	s_barrier
	ds_read_b64 v[110:111], v126
	ds_read_b64 v[112:113], v125
	;; [unrolled: 1-line block ×4, first 2 shown]
	ds_read2_b64 v[54:57], v98 offset0:48 offset1:148
	ds_read2_b64 v[42:45], v89 offset0:120 offset1:220
	;; [unrolled: 1-line block ×12, first 2 shown]
	ds_read_b64 v[118:119], v92
	ds_read_b64 v[0:1], v93
	s_waitcnt lgkmcnt(0)
	s_barrier
	ds_write2_b64 v96, v[62:63], v[64:65] offset1:30
	ds_write2_b64 v96, v[66:67], v[68:69] offset0:60 offset1:90
	ds_write2_b64 v96, v[70:71], v[72:73] offset0:120 offset1:150
	ds_write2_b64 v96, v[78:79], v[80:81] offset0:180 offset1:210
	ds_write2_b64 v105, v[82:83], v[84:85] offset0:112 offset1:142
	ds_write2_b64 v97, v[152:153], v[170:171] offset1:30
	ds_write2_b64 v97, v[172:173], v[174:175] offset0:60 offset1:90
	ds_write2_b64 v97, v[176:177], v[142:143] offset0:120 offset1:150
	ds_write2_b64 v97, v[132:133], v[130:131] offset0:180 offset1:210
	ds_write2_b64 v101, v[146:147], v[138:139] offset0:112 offset1:142
	;; [unrolled: 5-line block ×3, first 2 shown]
	s_waitcnt lgkmcnt(0)
	s_barrier
	s_and_saveexec_b64 s[0:1], vcc
	s_cbranch_execz .LBB0_15
; %bb.14:
	v_mul_i32_i24_e32 v6, 9, v124
	v_mov_b32_e32 v7, 0
	v_lshlrev_b64 v[2:3], 4, v[6:7]
	v_mov_b32_e32 v130, s9
	v_add_co_u32_e32 v6, vcc, s8, v2
	s_movk_i32 s9, 0x1260
	v_addc_co_u32_e32 v15, vcc, v130, v3, vcc
	v_add_co_u32_e64 v13, s[0:1], s9, v6
	v_add_co_u32_e32 v12, vcc, 0x1220, v6
	v_addc_co_u32_e64 v14, s[0:1], 0, v15, s[0:1]
	global_load_dwordx4 v[2:5], v[13:14], off offset:48
	global_load_dwordx4 v[16:19], v[13:14], off offset:32
	global_load_dwordx4 v[131:134], v[13:14], off offset:16
	v_addc_co_u32_e32 v13, vcc, 0, v15, vcc
	v_add_co_u32_e32 v14, vcc, 0x1000, v6
	global_load_dwordx4 v[135:138], v[12:13], off offset:32
	global_load_dwordx4 v[139:142], v[12:13], off offset:16
	;; [unrolled: 1-line block ×3, first 2 shown]
	v_addc_co_u32_e32 v15, vcc, 0, v15, vcc
	global_load_dwordx4 v[147:150], v[14:15], off offset:608
	global_load_dwordx4 v[151:154], v[14:15], off offset:672
	;; [unrolled: 1-line block ×3, first 2 shown]
	ds_read2_b64 v[12:15], v95 offset0:60 offset1:160
	ds_read2_b64 v[70:73], v89 offset0:120 offset1:220
	;; [unrolled: 1-line block ×9, first 2 shown]
	v_mul_i32_i24_e32 v6, 0xffffffb8, v124
	v_add_u32_e32 v32, v99, v6
	ds_read_b64 v[99:100], v32
	v_mul_i32_i24_e32 v6, 9, v123
	v_lshlrev_b64 v[6:7], 4, v[6:7]
	s_movk_i32 s1, 0x1220
	v_add_co_u32_e32 v101, vcc, s8, v6
	v_addc_co_u32_e32 v105, vcc, v130, v7, vcc
	v_add_co_u32_e32 v6, vcc, s1, v101
	s_movk_i32 s0, 0x1000
	v_addc_co_u32_e32 v7, vcc, 0, v105, vcc
	v_add_co_u32_e32 v185, vcc, s0, v101
	v_addc_co_u32_e32 v186, vcc, 0, v105, vcc
	v_add_co_u32_e32 v187, vcc, s9, v101
	v_addc_co_u32_e32 v188, vcc, 0, v105, vcc
	v_mul_i32_i24_e32 v201, 0xffffffb8, v123
	s_waitcnt vmcnt(8) lgkmcnt(7)
	v_mul_f64 v[32:33], v[2:3], v[62:63]
	v_mul_f64 v[62:63], v[4:5], v[62:63]
	s_waitcnt vmcnt(6) lgkmcnt(6)
	v_mul_f64 v[103:104], v[131:132], v[66:67]
	v_mul_f64 v[66:67], v[133:134], v[66:67]
	s_waitcnt lgkmcnt(2)
	v_mul_f64 v[107:108], v[18:19], v[96:97]
	v_mul_f64 v[96:97], v[16:17], v[96:97]
	s_waitcnt vmcnt(5)
	v_mul_f64 v[161:162], v[137:138], v[80:81]
	s_waitcnt vmcnt(4)
	v_mul_f64 v[159:160], v[139:140], v[14:15]
	v_mul_f64 v[80:81], v[135:136], v[80:81]
	s_waitcnt vmcnt(3)
	v_mul_f64 v[163:164], v[143:144], v[70:71]
	;; [unrolled: 3-line block ×3, first 2 shown]
	s_waitcnt vmcnt(1)
	v_mul_f64 v[167:168], v[153:154], v[84:85]
	v_mul_f64 v[84:85], v[151:152], v[84:85]
	;; [unrolled: 1-line block ×4, first 2 shown]
	s_waitcnt vmcnt(0) lgkmcnt(1)
	v_mul_f64 v[169:170], v[157:158], v[88:89]
	v_mul_f64 v[88:89], v[155:156], v[88:89]
	v_fma_f64 v[4:5], v[38:39], v[4:5], v[32:33]
	v_fma_f64 v[103:104], v[34:35], v[133:134], v[103:104]
	v_fma_f64 v[34:35], v[34:35], v[131:132], -v[66:67]
	v_fma_f64 v[38:39], v[38:39], v[2:3], -v[62:63]
	;; [unrolled: 1-line block ×3, first 2 shown]
	v_fma_f64 v[18:19], v[48:49], v[18:19], v[96:97]
	v_fma_f64 v[48:49], v[10:11], v[141:142], v[159:160]
	v_fma_f64 v[62:63], v[22:23], v[135:136], -v[161:162]
	v_fma_f64 v[22:23], v[22:23], v[137:138], v[80:81]
	v_fma_f64 v[66:67], v[42:43], v[145:146], v[163:164]
	v_fma_f64 v[42:43], v[42:43], v[143:144], -v[70:71]
	v_fma_f64 v[70:71], v[76:77], v[147:148], -v[165:166]
	;; [unrolled: 1-line block ×3, first 2 shown]
	v_fma_f64 v[84:85], v[30:31], v[153:154], v[84:85]
	v_fma_f64 v[76:77], v[76:77], v[149:150], v[92:93]
	v_fma_f64 v[14:15], v[10:11], v[139:140], -v[14:15]
	v_fma_f64 v[96:97], v[26:27], v[155:156], -v[169:170]
	v_fma_f64 v[26:27], v[26:27], v[157:158], v[88:89]
	v_add_f64 v[2:3], v[4:5], -v[103:104]
	v_add_f64 v[32:33], v[48:49], -v[66:67]
	v_add_f64 v[107:108], v[66:67], v[103:104]
	v_add_f64 v[131:132], v[62:63], -v[70:71]
	v_add_f64 v[133:134], v[80:81], -v[16:17]
	v_add_f64 v[135:136], v[70:71], v[16:17]
	v_add_f64 v[141:142], v[76:77], v[18:19]
	;; [unrolled: 1-line block ×4, first 2 shown]
	v_add_f64 v[88:89], v[14:15], -v[38:39]
	v_add_f64 v[30:31], v[48:49], v[4:5]
	v_add_f64 v[143:144], v[22:23], -v[84:85]
	v_add_f64 v[155:156], v[76:77], -v[18:19]
	;; [unrolled: 1-line block ×8, first 2 shown]
	v_add_f64 v[165:166], v[32:33], v[2:3]
	s_waitcnt lgkmcnt(0)
	v_fma_f64 v[2:3], v[107:108], -0.5, v[99:100]
	v_fma_f64 v[107:108], v[141:142], -0.5, v[26:27]
	;; [unrolled: 1-line block ×3, first 2 shown]
	v_add_f64 v[167:168], v[131:132], v[133:134]
	v_fma_f64 v[151:152], v[135:136], -0.5, v[96:97]
	v_fma_f64 v[131:132], v[153:154], -0.5, v[96:97]
	v_add_f64 v[10:11], v[103:104], -v[4:5]
	v_add_f64 v[92:93], v[42:43], -v[34:35]
	;; [unrolled: 1-line block ×5, first 2 shown]
	v_fma_f64 v[30:31], v[30:31], -0.5, v[99:100]
	v_add_f64 v[169:170], v[137:138], v[139:140]
	v_add_f64 v[133:134], v[147:148], v[149:150]
	v_fma_f64 v[135:136], v[159:160], s[4:5], v[107:108]
	v_fma_f64 v[137:138], v[157:158], s[16:17], v[32:33]
	;; [unrolled: 1-line block ×6, first 2 shown]
	v_add_f64 v[10:11], v[145:146], v[10:11]
	v_add_f64 v[145:146], v[161:162], v[163:164]
	v_fma_f64 v[139:140], v[92:93], s[16:17], v[30:31]
	v_fma_f64 v[135:136], v[157:158], s[6:7], v[135:136]
	;; [unrolled: 1-line block ×17, first 2 shown]
	global_load_dwordx4 v[131:134], v[185:186], off offset:544
	global_load_dwordx4 v[30:33], v[6:7], off offset:48
	;; [unrolled: 1-line block ×4, first 2 shown]
	v_fma_f64 v[189:190], v[88:89], s[14:15], v[153:154]
	v_fma_f64 v[191:192], v[145:146], s[10:11], v[149:150]
	;; [unrolled: 1-line block ×3, first 2 shown]
	global_load_dwordx4 v[143:146], v[6:7], off offset:32
	global_load_dwordx4 v[147:150], v[6:7], off offset:16
	;; [unrolled: 1-line block ×3, first 2 shown]
	v_fma_f64 v[2:3], v[88:89], s[16:17], v[2:3]
	v_fma_f64 v[107:108], v[159:160], s[16:17], v[107:108]
	;; [unrolled: 1-line block ×3, first 2 shown]
	v_add_f64 v[99:100], v[48:49], v[99:100]
	global_load_dwordx4 v[159:162], v[185:186], off offset:672
	v_add_f64 v[22:23], v[22:23], v[26:27]
	v_fma_f64 v[155:156], v[155:156], s[6:7], v[195:196]
	v_mul_f64 v[181:182], v[163:164], s[18:19]
	v_fma_f64 v[92:93], v[92:93], s[14:15], v[2:3]
	v_fma_f64 v[107:108], v[157:158], s[14:15], v[107:108]
	v_add_f64 v[157:158], v[14:15], v[38:39]
	v_add_f64 v[99:100], v[66:67], v[99:100]
	v_add_f64 v[66:67], v[66:67], -v[103:104]
	v_mul_f64 v[193:194], v[179:180], s[16:17]
	v_fma_f64 v[123:124], v[167:168], s[10:11], v[155:156]
	v_add_f64 v[155:156], v[42:43], v[34:35]
	v_fma_f64 v[92:93], v[165:166], s[10:11], v[92:93]
	v_fma_f64 v[26:27], v[169:170], s[10:11], v[107:108]
	v_fma_f64 v[167:168], v[157:158], -0.5, v[0:1]
	v_add_f64 v[48:49], v[48:49], -v[4:5]
	v_add_f64 v[99:100], v[103:104], v[99:100]
	v_mul_f64 v[103:104], v[175:176], s[18:19]
	v_mul_f64 v[107:108], v[123:124], s[14:15]
	v_fma_f64 v[165:166], v[155:156], -0.5, v[0:1]
	global_load_dwordx4 v[155:158], v[185:186], off offset:608
	v_add_f64 v[22:23], v[76:77], v[22:23]
	v_fma_f64 v[199:200], v[66:67], s[4:5], v[167:168]
	v_add_f64 v[76:77], v[14:15], -v[42:43]
	v_add_f64 v[169:170], v[38:39], -v[34:35]
	;; [unrolled: 1-line block ×3, first 2 shown]
	v_fma_f64 v[185:186], v[26:27], s[18:19], v[107:108]
	v_fma_f64 v[107:108], v[66:67], s[16:17], v[167:168]
	v_add_f64 v[197:198], v[34:35], -v[38:39]
	v_fma_f64 v[181:182], v[175:176], s[14:15], -v[181:182]
	v_fma_f64 v[187:188], v[10:11], s[10:11], v[189:190]
	v_fma_f64 v[189:190], v[191:192], s[10:11], v[193:194]
	;; [unrolled: 1-line block ×4, first 2 shown]
	v_add_f64 v[167:168], v[4:5], v[99:100]
	v_fma_f64 v[163:164], v[163:164], s[6:7], -v[103:104]
	v_add_f64 v[99:100], v[0:1], v[14:15]
	v_fma_f64 v[103:104], v[48:49], s[6:7], v[107:108]
	v_fma_f64 v[48:49], v[48:49], s[4:5], v[165:166]
	v_add_f64 v[62:63], v[62:63], v[96:97]
	v_add_f64 v[18:19], v[18:19], v[22:23]
	;; [unrolled: 1-line block ×4, first 2 shown]
	v_fma_f64 v[76:77], v[66:67], s[14:15], v[193:194]
	v_add_f64 v[42:43], v[99:100], v[42:43]
	v_mul_f64 v[107:108], v[191:192], s[4:5]
	v_fma_f64 v[48:49], v[66:67], s[6:7], v[48:49]
	v_add_f64 v[62:63], v[70:71], v[62:63]
	ds_read2_b64 v[98:101], v98 offset0:48 offset1:148
	v_mul_f64 v[26:27], v[26:27], s[6:7]
	v_fma_f64 v[96:97], v[169:170], s[10:11], v[103:104]
	ds_read2_b64 v[102:105], v102 offset0:8 offset1:108
	v_fma_f64 v[76:77], v[22:23], s[10:11], v[76:77]
	v_add_f64 v[34:35], v[42:43], v[34:35]
	v_fma_f64 v[70:71], v[22:23], s[10:11], v[48:49]
	v_add_f64 v[16:17], v[16:17], v[62:63]
	v_fma_f64 v[66:67], v[179:180], s[10:11], v[107:108]
	ds_read2_b64 v[106:109], v106 offset0:96 offset1:196
	v_fma_f64 v[62:63], v[123:124], s[18:19], v[26:27]
	v_mul_f64 v[183:184], v[171:172], s[10:11]
	v_add_f64 v[84:85], v[84:85], v[18:19]
	v_add_f64 v[38:39], v[38:39], v[34:35]
	v_add_f64 v[14:15], v[92:93], -v[185:186]
	v_add_f64 v[80:81], v[80:81], v[16:17]
	v_fma_f64 v[175:176], v[169:170], s[10:11], v[175:176]
	v_add_f64 v[0:1], v[76:77], -v[163:164]
	v_add_f64 v[2:3], v[173:174], -v[181:182]
	v_fma_f64 v[183:184], v[177:178], s[16:17], -v[183:184]
	v_add_f64 v[18:19], v[167:168], -v[84:85]
	v_add_f64 v[48:49], v[167:168], v[84:85]
	s_waitcnt vmcnt(7) lgkmcnt(2)
	v_mul_f64 v[42:43], v[30:31], v[100:101]
	s_waitcnt vmcnt(5) lgkmcnt(1)
	v_mul_f64 v[22:23], v[139:140], v[104:105]
	v_mul_f64 v[177:178], v[177:178], s[10:11]
	v_add_f64 v[10:11], v[187:188], -v[189:190]
	s_waitcnt vmcnt(3)
	v_mul_f64 v[26:27], v[149:150], v[12:13]
	s_waitcnt vmcnt(2) lgkmcnt(0)
	v_mul_f64 v[34:35], v[153:154], v[108:109]
	v_mul_f64 v[12:13], v[147:148], v[12:13]
	;; [unrolled: 1-line block ×3, first 2 shown]
	v_fma_f64 v[42:43], v[56:57], v[32:33], v[42:43]
	v_fma_f64 v[123:124], v[60:61], v[141:142], v[22:23]
	v_mul_f64 v[22:23], v[32:33], v[100:101]
	v_mul_f64 v[32:33], v[141:142], v[104:105]
	v_fma_f64 v[100:101], v[8:9], v[147:148], -v[26:27]
	v_fma_f64 v[104:105], v[52:53], v[151:152], -v[34:35]
	v_fma_f64 v[108:109], v[8:9], v[149:150], v[12:13]
	v_fma_f64 v[52:53], v[52:53], v[153:154], v[16:17]
	v_add_u32_e32 v8, v129, v201
	v_add_f64 v[26:27], v[42:43], v[123:124]
	ds_read_b64 v[147:148], v8
	v_fma_f64 v[56:57], v[56:57], v[30:31], -v[22:23]
	v_fma_f64 v[60:61], v[60:61], v[139:140], -v[32:33]
	v_add_f64 v[139:140], v[100:101], -v[104:105]
	v_add_f64 v[32:33], v[108:109], -v[42:43]
	;; [unrolled: 1-line block ×4, first 2 shown]
	s_waitcnt lgkmcnt(0)
	v_fma_f64 v[141:142], v[26:27], -0.5, v[147:148]
	v_add_f64 v[26:27], v[88:89], v[183:184]
	v_add_f64 v[34:35], v[92:93], v[185:186]
	v_add_f64 v[165:166], v[56:57], -v[60:61]
	v_mul_f64 v[92:93], v[135:136], v[94:95]
	s_waitcnt vmcnt(0)
	v_mul_f64 v[88:89], v[157:158], v[90:91]
	v_add_f64 v[84:85], v[32:33], v[149:150]
	v_mul_f64 v[32:33], v[155:156], v[90:91]
	v_fma_f64 v[151:152], v[139:140], s[4:5], v[141:142]
	v_mul_f64 v[94:95], v[137:138], v[94:95]
	v_mul_f64 v[149:150], v[145:146], v[78:79]
	v_add_f64 v[8:9], v[96:97], -v[66:67]
	v_fma_f64 v[171:172], v[171:172], s[4:5], -v[177:178]
	v_fma_f64 v[167:168], v[74:75], v[155:156], -v[88:89]
	v_mul_f64 v[88:89], v[161:162], v[82:83]
	v_fma_f64 v[74:75], v[74:75], v[157:158], v[32:33]
	v_fma_f64 v[90:91], v[165:166], s[6:7], v[151:152]
	v_mul_f64 v[151:152], v[133:134], v[86:87]
	v_mul_f64 v[32:33], v[131:132], v[86:87]
	v_fma_f64 v[86:87], v[46:47], v[137:138], v[92:93]
	v_fma_f64 v[92:93], v[46:47], v[135:136], -v[94:95]
	v_mul_f64 v[46:47], v[143:144], v[78:79]
	v_mul_f64 v[78:79], v[159:160], v[82:83]
	v_fma_f64 v[82:83], v[20:21], v[143:144], -v[149:150]
	v_fma_f64 v[94:95], v[28:29], v[159:160], -v[88:89]
	;; [unrolled: 1-line block ×3, first 2 shown]
	v_fma_f64 v[88:89], v[24:25], v[133:134], v[32:33]
	v_add_f64 v[32:33], v[74:75], v[86:87]
	v_add_f64 v[131:132], v[167:168], v[92:93]
	v_fma_f64 v[145:146], v[20:21], v[145:146], v[46:47]
	v_fma_f64 v[78:79], v[28:29], v[161:162], v[78:79]
	v_add_f64 v[20:21], v[76:77], v[163:164]
	v_add_f64 v[28:29], v[96:97], v[66:67]
	v_add_f64 v[66:67], v[82:83], -v[94:95]
	v_add_f64 v[149:150], v[167:168], -v[92:93]
	v_fma_f64 v[76:77], v[32:33], -0.5, v[88:89]
	v_fma_f64 v[96:97], v[131:132], -0.5, v[169:170]
	v_add_f64 v[32:33], v[145:146], -v[74:75]
	v_add_f64 v[131:132], v[145:146], -v[78:79]
	;; [unrolled: 1-line block ×3, first 2 shown]
	v_add_f64 v[133:134], v[145:146], v[78:79]
	v_add_f64 v[137:138], v[82:83], -v[167:168]
	v_add_f64 v[143:144], v[94:95], -v[92:93]
	v_fma_f64 v[135:136], v[66:67], s[4:5], v[76:77]
	v_add_f64 v[151:152], v[82:83], v[94:95]
	v_add_f64 v[155:156], v[74:75], -v[86:87]
	v_fma_f64 v[153:154], v[131:132], s[16:17], v[96:97]
	v_add_f64 v[157:158], v[32:33], v[46:47]
	v_fma_f64 v[133:134], v[133:134], -0.5, v[88:89]
	v_add_f64 v[46:47], v[108:109], v[52:53]
	v_add_f64 v[4:5], v[175:176], -v[171:172]
	v_fma_f64 v[32:33], v[149:150], s[6:7], v[135:136]
	v_add_f64 v[24:25], v[175:176], v[171:172]
	v_add_f64 v[159:160], v[137:138], v[143:144]
	v_fma_f64 v[135:136], v[151:152], -0.5, v[169:170]
	v_add_f64 v[137:138], v[74:75], -v[145:146]
	v_add_f64 v[143:144], v[86:87], -v[78:79]
	v_fma_f64 v[151:152], v[149:150], s[16:17], v[133:134]
	v_fma_f64 v[153:154], v[155:156], s[14:15], v[153:154]
	;; [unrolled: 1-line block ×3, first 2 shown]
	v_fma_f64 v[32:33], v[46:47], -0.5, v[147:148]
	v_add_f64 v[22:23], v[173:174], v[181:182]
	v_add_f64 v[46:47], v[167:168], -v[82:83]
	v_add_f64 v[161:162], v[92:93], -v[94:95]
	v_fma_f64 v[163:164], v[155:156], s[4:5], v[135:136]
	v_add_f64 v[137:138], v[137:138], v[143:144]
	v_fma_f64 v[143:144], v[66:67], s[6:7], v[151:152]
	v_fma_f64 v[173:174], v[159:160], s[10:11], v[153:154]
	v_mul_f64 v[151:152], v[171:172], s[18:19]
	v_add_f64 v[153:154], v[42:43], -v[108:109]
	v_add_f64 v[175:176], v[123:124], -v[52:53]
	v_fma_f64 v[177:178], v[165:166], s[16:17], v[32:33]
	v_fma_f64 v[135:136], v[155:156], s[16:17], v[135:136]
	;; [unrolled: 1-line block ×4, first 2 shown]
	v_add_f64 v[161:162], v[46:47], v[161:162]
	v_fma_f64 v[46:47], v[131:132], s[14:15], v[163:164]
	v_fma_f64 v[179:180], v[137:138], s[10:11], v[143:144]
	v_fma_f64 v[181:182], v[173:174], s[14:15], -v[151:152]
	v_add_f64 v[143:144], v[153:154], v[175:176]
	v_fma_f64 v[151:152], v[139:140], s[6:7], v[177:178]
	v_fma_f64 v[135:136], v[131:132], s[6:7], v[135:136]
	;; [unrolled: 1-line block ×6, first 2 shown]
	v_mul_u32_u24_e32 v96, 9, v122
	v_lshlrev_b32_e32 v96, 4, v96
	v_add_f64 v[16:17], v[38:39], -v[80:81]
	v_fma_f64 v[175:176], v[161:162], s[10:11], v[46:47]
	v_add_f64 v[46:47], v[38:39], v[80:81]
	v_fma_f64 v[38:39], v[143:144], s[10:11], v[151:152]
	v_add_co_u32_e32 v151, vcc, s8, v96
	v_mul_f64 v[153:154], v[179:180], s[10:11]
	v_addc_co_u32_e32 v152, vcc, 0, v130, vcc
	v_add_co_u32_e32 v96, vcc, s1, v151
	v_addc_co_u32_e32 v97, vcc, 0, v152, vcc
	v_fma_f64 v[185:186], v[161:162], s[10:11], v[135:136]
	v_add_co_u32_e32 v161, vcc, s0, v151
	v_fma_f64 v[177:178], v[143:144], s[10:11], v[163:164]
	v_fma_f64 v[183:184], v[137:138], s[10:11], v[133:134]
	;; [unrolled: 1-line block ×3, first 2 shown]
	v_addc_co_u32_e32 v162, vcc, 0, v152, vcc
	global_load_dwordx4 v[129:132], v[96:97], off offset:32
	global_load_dwordx4 v[133:136], v[96:97], off offset:16
	global_load_dwordx4 v[137:140], v[161:162], off offset:544
	global_load_dwordx4 v[141:144], v[96:97], off offset:48
	v_add_f64 v[12:13], v[70:71], -v[62:63]
	v_add_f64 v[32:33], v[70:71], v[62:63]
	v_fma_f64 v[70:71], v[175:176], s[16:17], -v[153:154]
	v_add_co_u32_e32 v153, vcc, s9, v151
	v_addc_co_u32_e32 v154, vcc, 0, v152, vcc
	v_fma_f64 v[66:67], v[149:150], s[14:15], v[66:67]
	v_fma_f64 v[76:77], v[155:156], s[6:7], v[76:77]
	v_add_f64 v[96:97], v[108:109], v[147:148]
	v_add_f64 v[88:89], v[145:146], v[88:89]
	global_load_dwordx4 v[145:148], v[153:154], off offset:48
	global_load_dwordx4 v[149:152], v[153:154], off offset:32
	s_nop 0
	global_load_dwordx4 v[153:156], v[153:154], off offset:16
	v_add_f64 v[30:31], v[187:188], v[189:190]
	v_add_f64 v[163:164], v[56:57], v[60:61]
	v_fma_f64 v[80:81], v[165:166], s[14:15], v[80:81]
	v_fma_f64 v[66:67], v[157:158], s[10:11], v[66:67]
	;; [unrolled: 1-line block ×3, first 2 shown]
	global_load_dwordx4 v[157:160], v[161:162], off offset:608
	v_add_f64 v[76:77], v[42:43], v[96:97]
	v_add_f64 v[74:75], v[74:75], v[88:89]
	v_add_f64 v[108:109], v[108:109], -v[52:53]
	v_fma_f64 v[96:97], v[163:164], -0.5, v[118:119]
	global_load_dwordx4 v[161:164], v[161:162], off offset:672
	v_add_f64 v[165:166], v[104:105], -v[60:61]
	v_add_f64 v[193:194], v[100:101], v[104:105]
	v_add_f64 v[42:43], v[42:43], -v[123:124]
	v_add_f64 v[82:83], v[82:83], v[169:170]
	v_add_f64 v[74:75], v[86:87], v[74:75]
	v_add_f64 v[86:87], v[100:101], -v[56:57]
	v_fma_f64 v[191:192], v[108:109], s[16:17], v[96:97]
	v_mul_f64 v[169:170], v[175:176], s[10:11]
	v_mul_f64 v[187:188], v[185:186], s[16:17]
	v_fma_f64 v[96:97], v[108:109], s[4:5], v[96:97]
	v_fma_f64 v[90:91], v[84:85], s[10:11], v[90:91]
	v_add_f64 v[82:83], v[167:168], v[82:83]
	v_add_f64 v[197:198], v[78:79], v[74:75]
	v_fma_f64 v[74:75], v[193:194], -0.5, v[118:119]
	v_add_f64 v[78:79], v[86:87], v[165:166]
	v_add_f64 v[165:166], v[56:57], -v[100:101]
	v_add_f64 v[100:101], v[118:119], v[100:101]
	v_fma_f64 v[86:87], v[42:43], s[14:15], v[191:192]
	v_add_f64 v[191:192], v[60:61], -v[104:105]
	v_add_f64 v[82:83], v[92:93], v[82:83]
	v_add_f64 v[76:77], v[123:124], v[76:77]
	v_fma_f64 v[193:194], v[42:43], s[4:5], v[74:75]
	v_fma_f64 v[74:75], v[42:43], s[16:17], v[74:75]
	;; [unrolled: 1-line block ×3, first 2 shown]
	v_add_f64 v[56:57], v[100:101], v[56:57]
	v_fma_f64 v[199:200], v[78:79], s[10:11], v[86:87]
	v_mul_f64 v[86:87], v[173:174], s[18:19]
	v_add_f64 v[118:119], v[165:166], v[191:192]
	v_add_f64 v[62:63], v[90:91], -v[181:182]
	v_fma_f64 v[165:166], v[108:109], s[14:15], v[193:194]
	v_fma_f64 v[74:75], v[108:109], s[6:7], v[74:75]
	v_fma_f64 v[108:109], v[179:180], s[4:5], -v[169:170]
	v_add_f64 v[56:57], v[56:57], v[60:61]
	ds_read_b64 v[169:170], v127
	v_fma_f64 v[171:172], v[171:172], s[6:7], -v[86:87]
	v_fma_f64 v[187:188], v[84:85], s[10:11], v[80:81]
	v_add_f64 v[52:53], v[52:53], v[76:77]
	v_fma_f64 v[100:101], v[118:119], s[10:11], v[165:166]
	v_add_f64 v[76:77], v[38:39], -v[70:71]
	v_add_f64 v[80:81], v[177:178], -v[123:124]
	v_add_f64 v[56:57], v[104:105], v[56:57]
	v_add_f64 v[104:105], v[94:95], v[82:83]
	v_fma_f64 v[42:43], v[42:43], s[6:7], v[96:97]
	v_fma_f64 v[118:119], v[118:119], s[10:11], v[74:75]
	v_add_f64 v[60:61], v[199:200], -v[171:172]
	v_add_f64 v[74:75], v[100:101], -v[108:109]
	v_add_f64 v[92:93], v[90:91], v[181:182]
	v_add_f64 v[96:97], v[38:39], v[70:71]
	;; [unrolled: 1-line block ×4, first 2 shown]
	ds_read_b64 v[126:127], v126
	ds_read_b64 v[173:174], v128
	;; [unrolled: 1-line block ×3, first 2 shown]
	v_mul_f64 v[86:87], v[183:184], s[4:5]
	v_fma_f64 v[167:168], v[78:79], s[10:11], v[42:43]
	v_mul_f64 v[88:89], v[189:190], s[14:15]
	s_waitcnt vmcnt(7) lgkmcnt(3)
	v_mul_f64 v[94:95], v[133:134], v[169:170]
	s_waitcnt vmcnt(5)
	v_mul_f64 v[179:180], v[141:142], v[98:99]
	v_mul_f64 v[98:99], v[143:144], v[98:99]
	v_fma_f64 v[165:166], v[185:186], s[10:11], v[86:87]
	v_add_f64 v[86:87], v[56:57], -v[104:105]
	v_fma_f64 v[195:196], v[66:67], s[18:19], v[88:89]
	v_fma_f64 v[70:71], v[116:117], v[135:136], v[94:95]
	v_add_f64 v[94:95], v[100:101], v[108:109]
	v_mul_f64 v[108:109], v[135:136], v[169:170]
	v_fma_f64 v[123:124], v[54:55], v[143:144], v[179:180]
	s_waitcnt vmcnt(4)
	v_mul_f64 v[177:178], v[145:146], v[106:107]
	v_mul_f64 v[106:107], v[147:148], v[106:107]
	s_waitcnt vmcnt(2)
	v_mul_f64 v[171:172], v[153:154], v[102:103]
	v_mul_f64 v[100:101], v[155:156], v[102:103]
	v_fma_f64 v[54:55], v[54:55], v[141:142], -v[98:99]
	v_mul_f64 v[98:99], v[151:152], v[68:69]
	v_mul_f64 v[68:69], v[149:150], v[68:69]
	s_waitcnt lgkmcnt(0)
	v_mul_f64 v[141:142], v[139:140], v[175:176]
	v_fma_f64 v[135:136], v[50:51], v[147:148], v[177:178]
	s_waitcnt vmcnt(1)
	v_mul_f64 v[147:148], v[159:160], v[72:73]
	v_fma_f64 v[143:144], v[58:59], v[155:156], v[171:172]
	v_fma_f64 v[58:59], v[58:59], v[153:154], -v[100:101]
	v_fma_f64 v[100:101], v[116:117], v[133:134], -v[108:109]
	v_mul_f64 v[108:109], v[131:132], v[173:174]
	v_mul_f64 v[72:73], v[157:158], v[72:73]
	v_fma_f64 v[106:107], v[50:51], v[145:146], -v[106:107]
	s_waitcnt vmcnt(0)
	v_mul_f64 v[133:134], v[163:164], v[64:65]
	v_fma_f64 v[116:117], v[44:45], v[157:158], -v[147:148]
	v_add_f64 v[50:51], v[123:124], v[143:144]
	v_fma_f64 v[98:99], v[36:37], v[149:150], -v[98:99]
	v_mul_f64 v[64:65], v[161:162], v[64:65]
	v_fma_f64 v[108:109], v[114:115], v[129:130], -v[108:109]
	v_mul_f64 v[128:129], v[129:130], v[173:174]
	v_fma_f64 v[44:45], v[44:45], v[159:160], v[72:73]
	v_mul_f64 v[72:73], v[137:138], v[175:176]
	v_fma_f64 v[68:69], v[36:37], v[151:152], v[68:69]
	v_fma_f64 v[133:134], v[40:41], v[161:162], -v[133:134]
	v_fma_f64 v[141:142], v[112:113], v[137:138], -v[141:142]
	v_add_f64 v[145:146], v[116:117], v[98:99]
	v_fma_f64 v[64:65], v[40:41], v[163:164], v[64:65]
	v_fma_f64 v[114:115], v[114:115], v[131:132], v[128:129]
	v_fma_f64 v[130:131], v[50:51], -0.5, v[126:127]
	v_fma_f64 v[72:73], v[112:113], v[139:140], v[72:73]
	v_add_f64 v[50:51], v[44:45], v[68:69]
	v_add_f64 v[36:37], v[108:109], -v[116:117]
	v_add_f64 v[40:41], v[133:134], -v[98:99]
	v_fma_f64 v[112:113], v[145:146], -0.5, v[141:142]
	v_add_f64 v[151:152], v[108:109], -v[133:134]
	v_add_f64 v[137:138], v[114:115], -v[64:65]
	v_add_f64 v[149:150], v[114:115], v[64:65]
	v_add_f64 v[128:129], v[100:101], -v[106:107]
	v_fma_f64 v[153:154], v[50:51], -0.5, v[72:73]
	v_add_f64 v[50:51], v[114:115], -v[44:45]
	v_add_f64 v[155:156], v[36:37], v[40:41]
	v_add_f64 v[40:41], v[108:109], v[133:134]
	v_add_f64 v[157:158], v[116:117], -v[98:99]
	v_fma_f64 v[36:37], v[137:138], s[16:17], v[112:113]
	v_fma_f64 v[149:150], v[149:150], -0.5, v[72:73]
	v_add_f64 v[159:160], v[64:65], -v[68:69]
	v_fma_f64 v[161:162], v[151:152], s[4:5], v[153:154]
	v_add_f64 v[163:164], v[70:71], v[135:136]
	v_add_f64 v[169:170], v[44:45], -v[68:69]
	v_add_f64 v[102:103], v[70:71], -v[123:124]
	;; [unrolled: 1-line block ×4, first 2 shown]
	v_fma_f64 v[147:148], v[128:129], s[4:5], v[130:131]
	v_fma_f64 v[40:41], v[40:41], -0.5, v[141:142]
	v_add_f64 v[171:172], v[44:45], -v[114:115]
	v_add_f64 v[173:174], v[68:69], -v[64:65]
	v_fma_f64 v[175:176], v[157:158], s[16:17], v[149:150]
	v_add_f64 v[159:160], v[50:51], v[159:160]
	v_fma_f64 v[50:51], v[157:158], s[6:7], v[161:162]
	v_fma_f64 v[161:162], v[163:164], -0.5, v[126:127]
	v_fma_f64 v[36:37], v[169:170], s[14:15], v[36:37]
	v_add_f64 v[78:79], v[118:119], -v[165:166]
	v_add_f64 v[163:164], v[116:117], -v[108:109]
	;; [unrolled: 1-line block ×3, first 2 shown]
	v_fma_f64 v[179:180], v[169:170], s[4:5], v[40:41]
	v_add_f64 v[171:172], v[171:172], v[173:174]
	v_fma_f64 v[173:174], v[151:152], s[6:7], v[175:176]
	v_fma_f64 v[175:176], v[159:160], s[10:11], v[50:51]
	v_add_f64 v[50:51], v[123:124], -v[70:71]
	v_add_f64 v[181:182], v[143:144], -v[135:136]
	v_fma_f64 v[183:184], v[145:146], s[16:17], v[161:162]
	v_add_f64 v[102:103], v[102:103], v[139:140]
	v_fma_f64 v[139:140], v[145:146], s[6:7], v[147:148]
	v_fma_f64 v[147:148], v[155:156], s[10:11], v[36:37]
	v_add_f64 v[36:37], v[118:119], v[165:166]
	v_fma_f64 v[118:119], v[145:146], s[4:5], v[161:162]
	v_add_f64 v[163:164], v[163:164], v[177:178]
	v_fma_f64 v[177:178], v[137:138], s[14:15], v[179:180]
	v_mul_f64 v[179:180], v[175:176], s[18:19]
	v_add_f64 v[181:182], v[50:51], v[181:182]
	v_fma_f64 v[50:51], v[128:129], s[6:7], v[183:184]
	v_fma_f64 v[165:166], v[169:170], s[16:17], v[40:41]
	;; [unrolled: 1-line block ×5, first 2 shown]
	v_add_f64 v[125:126], v[70:71], v[126:127]
	v_fma_f64 v[127:128], v[128:129], s[16:17], v[130:131]
	v_add_f64 v[72:73], v[114:115], v[72:73]
	v_fma_f64 v[161:162], v[147:148], s[14:15], -v[179:180]
	v_fma_f64 v[179:180], v[181:182], s[10:11], v[50:51]
	v_add_f64 v[50:51], v[56:57], v[104:105]
	v_fma_f64 v[104:105], v[137:138], s[6:7], v[165:166]
	v_fma_f64 v[137:138], v[151:152], s[14:15], v[149:150]
	;; [unrolled: 1-line block ×5, first 2 shown]
	v_add_f64 v[44:45], v[44:45], v[72:73]
	v_add_f64 v[153:154], v[100:101], v[106:107]
	;; [unrolled: 1-line block ×3, first 2 shown]
	v_fma_f64 v[139:140], v[102:103], s[10:11], v[139:140]
	v_fma_f64 v[104:105], v[163:164], s[10:11], v[104:105]
	v_add_f64 v[151:152], v[54:55], v[58:59]
	v_fma_f64 v[129:130], v[157:158], s[14:15], v[149:150]
	v_fma_f64 v[112:113], v[155:156], s[10:11], v[112:113]
	v_add_f64 v[145:146], v[100:101], -v[54:55]
	v_add_f64 v[149:150], v[106:107], -v[58:59]
	;; [unrolled: 1-line block ×3, first 2 shown]
	v_add_f64 v[44:45], v[68:69], v[44:45]
	v_fma_f64 v[127:128], v[102:103], s[10:11], v[127:128]
	v_fma_f64 v[102:103], v[153:154], -0.5, v[110:111]
	v_add_f64 v[114:115], v[143:144], v[114:115]
	v_add_f64 v[143:144], v[54:55], -v[100:101]
	v_add_f64 v[100:101], v[110:111], v[100:101]
	v_add_f64 v[108:109], v[108:109], v[141:142]
	v_fma_f64 v[137:138], v[171:172], s[10:11], v[137:138]
	v_mul_f64 v[125:126], v[104:105], s[16:17]
	v_fma_f64 v[131:132], v[151:152], -0.5, v[110:111]
	v_add_f64 v[70:71], v[70:71], -v[135:136]
	v_fma_f64 v[129:130], v[159:160], s[10:11], v[129:130]
	v_mul_f64 v[72:73], v[112:113], s[14:15]
	v_add_f64 v[68:69], v[145:146], v[149:150]
	v_add_f64 v[44:45], v[64:65], v[44:45]
	v_mul_f64 v[64:65], v[147:148], s[18:19]
	v_add_f64 v[145:146], v[58:59], -v[106:107]
	v_fma_f64 v[110:111], v[123:124], s[4:5], v[102:103]
	v_fma_f64 v[102:103], v[123:124], s[16:17], v[102:103]
	v_add_f64 v[54:55], v[100:101], v[54:55]
	v_add_f64 v[100:101], v[116:117], v[108:109]
	v_fma_f64 v[118:119], v[181:182], s[10:11], v[118:119]
	v_fma_f64 v[151:152], v[70:71], s[16:17], v[131:132]
	;; [unrolled: 1-line block ×4, first 2 shown]
	v_fma_f64 v[141:142], v[175:176], s[6:7], -v[64:65]
	v_fma_f64 v[64:65], v[70:71], s[4:5], v[131:132]
	v_add_f64 v[131:132], v[143:144], v[145:146]
	v_fma_f64 v[108:109], v[70:71], s[14:15], v[110:111]
	v_fma_f64 v[70:71], v[70:71], s[6:7], v[102:103]
	v_mul_f64 v[116:117], v[129:130], s[6:7]
	v_add_f64 v[54:55], v[54:55], v[58:59]
	v_add_f64 v[58:59], v[98:99], v[100:101]
	v_fma_f64 v[177:178], v[163:164], s[10:11], v[177:178]
	v_add_f64 v[114:115], v[135:136], v[114:115]
	v_mul_f64 v[102:103], v[137:138], s[4:5]
	v_fma_f64 v[135:136], v[123:124], s[14:15], v[151:152]
	v_fma_f64 v[64:65], v[123:124], s[6:7], v[64:65]
	;; [unrolled: 1-line block ×5, first 2 shown]
	v_add_f64 v[70:71], v[118:119], -v[125:126]
	v_add_f64 v[100:101], v[127:128], -v[72:73]
	v_add_f64 v[116:117], v[118:119], v[125:126]
	v_add_f64 v[125:126], v[127:128], v[72:73]
	v_mad_u64_u32 v[72:73], s[0:1], s2, v122, 0
	v_add_f64 v[147:148], v[106:107], v[54:55]
	v_add_f64 v[58:59], v[133:134], v[58:59]
	v_fma_f64 v[173:174], v[171:172], s[10:11], v[173:174]
	v_mul_f64 v[110:111], v[177:178], s[10:11]
	v_fma_f64 v[137:138], v[104:105], s[10:11], v[102:103]
	v_add_f64 v[104:105], v[114:115], -v[44:45]
	v_add_f64 v[129:130], v[114:115], v[44:45]
	v_mov_b32_e32 v44, v73
	v_mad_u64_u32 v[44:45], s[0:1], s3, v122, v[44:45]
	v_add_u32_e32 v118, 0x12c, v122
	v_add_f64 v[102:103], v[147:148], -v[58:59]
	v_mov_b32_e32 v73, v44
	v_add_f64 v[127:128], v[147:148], v[58:59]
	v_lshlrev_b64 v[58:59], 4, v[72:73]
	v_mad_u64_u32 v[72:73], s[0:1], s2, v118, 0
	v_fma_f64 v[110:111], v[173:174], s[4:5], -v[110:111]
	v_fma_f64 v[143:144], v[68:69], s[10:11], v[64:65]
	v_mul_f64 v[183:184], v[173:174], s[10:11]
	v_mov_b32_e32 v45, s13
	v_add_co_u32_e32 v44, vcc, s12, v120
	v_addc_co_u32_e32 v45, vcc, v45, v121, vcc
	v_mad_u64_u32 v[118:119], s[0:1], s3, v118, v[73:74]
	v_add_u32_e32 v121, 0x258, v122
	v_mad_u64_u32 v[119:120], s[0:1], s2, v121, 0
	v_add_co_u32_e32 v58, vcc, v44, v58
	v_addc_co_u32_e32 v59, vcc, v45, v59, vcc
	v_mov_b32_e32 v73, v118
	global_store_dwordx4 v[58:59], v[127:130], off
	v_lshlrev_b64 v[58:59], 4, v[72:73]
	v_mov_b32_e32 v72, v120
	v_add_f64 v[64:65], v[123:124], -v[110:111]
	v_add_f64 v[110:111], v[123:124], v[110:111]
	v_add_f64 v[123:124], v[143:144], v[145:146]
	v_mad_u64_u32 v[72:73], s[0:1], s3, v121, v[72:73]
	v_fma_f64 v[183:184], v[177:178], s[16:17], -v[183:184]
	v_add_u32_e32 v118, 0x384, v122
	v_mov_b32_e32 v120, v72
	v_mad_u64_u32 v[72:73], s[0:1], s2, v118, 0
	v_add_f64 v[114:115], v[131:132], v[137:138]
	v_add_co_u32_e32 v58, vcc, v44, v58
	v_addc_co_u32_e32 v59, vcc, v45, v59, vcc
	global_store_dwordx4 v[58:59], v[123:126], off
	v_lshlrev_b64 v[58:59], 4, v[119:120]
	v_mad_u64_u32 v[118:119], s[0:1], s3, v118, v[73:74]
	v_add_u32_e32 v121, 0x4b0, v122
	v_add_f64 v[112:113], v[179:180], v[183:184]
	v_mad_u64_u32 v[119:120], s[0:1], s2, v121, 0
	v_fma_f64 v[135:136], v[68:69], s[10:11], v[135:136]
	v_add_co_u32_e32 v58, vcc, v44, v58
	v_addc_co_u32_e32 v59, vcc, v45, v59, vcc
	v_mov_b32_e32 v73, v118
	global_store_dwordx4 v[58:59], v[114:117], off
	v_lshlrev_b64 v[58:59], 4, v[72:73]
	v_mov_b32_e32 v72, v120
	v_mad_u64_u32 v[72:73], s[0:1], s3, v121, v[72:73]
	v_add_co_u32_e32 v58, vcc, v44, v58
	v_addc_co_u32_e32 v59, vcc, v45, v59, vcc
	global_store_dwordx4 v[58:59], v[110:113], off
	v_mov_b32_e32 v120, v72
	v_add_u32_e32 v110, 0x5dc, v122
	v_mad_u64_u32 v[72:73], s[0:1], s2, v110, 0
	v_add_f64 v[108:109], v[139:140], v[161:162]
	v_add_f64 v[106:107], v[135:136], v[141:142]
	v_mad_u64_u32 v[110:111], s[0:1], s3, v110, v[73:74]
	v_add_u32_e32 v113, 0x708, v122
	v_lshlrev_b64 v[58:59], 4, v[119:120]
	v_mad_u64_u32 v[111:112], s[0:1], s2, v113, 0
	v_add_co_u32_e32 v58, vcc, v44, v58
	v_addc_co_u32_e32 v59, vcc, v45, v59, vcc
	v_mov_b32_e32 v73, v110
	v_mul_f64 v[66:67], v[66:67], s[6:7]
	global_store_dwordx4 v[58:59], v[106:109], off
	v_lshlrev_b64 v[58:59], 4, v[72:73]
	v_mov_b32_e32 v72, v112
	v_mad_u64_u32 v[72:73], s[0:1], s3, v113, v[72:73]
	v_add_co_u32_e32 v58, vcc, v44, v58
	v_addc_co_u32_e32 v59, vcc, v45, v59, vcc
	global_store_dwordx4 v[58:59], v[102:105], off
	v_mov_b32_e32 v112, v72
	v_add_u32_e32 v102, 0x834, v122
	v_mad_u64_u32 v[72:73], s[0:1], s2, v102, 0
	v_add_f64 v[98:99], v[143:144], -v[145:146]
	v_fma_f64 v[66:67], v[189:190], s[18:19], v[66:67]
	v_mad_u64_u32 v[102:103], s[0:1], s3, v102, v[73:74]
	v_add_u32_e32 v105, 0x960, v122
	v_lshlrev_b64 v[58:59], 4, v[111:112]
	v_mad_u64_u32 v[103:104], s[0:1], s2, v105, 0
	v_add_f64 v[68:69], v[131:132], -v[137:138]
	v_add_co_u32_e32 v58, vcc, v44, v58
	v_addc_co_u32_e32 v59, vcc, v45, v59, vcc
	v_mov_b32_e32 v73, v102
	global_store_dwordx4 v[58:59], v[98:101], off
	v_lshlrev_b64 v[58:59], 4, v[72:73]
	v_mov_b32_e32 v72, v104
	v_mad_u64_u32 v[72:73], s[0:1], s3, v105, v[72:73]
	v_add_f64 v[82:83], v[167:168], -v[66:67]
	v_add_f64 v[40:41], v[167:168], v[66:67]
	v_add_f64 v[66:67], v[179:180], -v[183:184]
	v_add_co_u32_e32 v58, vcc, v44, v58
	v_addc_co_u32_e32 v59, vcc, v45, v59, vcc
	global_store_dwordx4 v[58:59], v[68:71], off
	v_mov_b32_e32 v104, v72
	v_add_u32_e32 v70, 0xa8c, v122
	v_lshlrev_b64 v[58:59], 4, v[103:104]
	v_mad_u64_u32 v[68:69], s[0:1], s2, v70, 0
	v_add_co_u32_e32 v58, vcc, v44, v58
	v_addc_co_u32_e32 v59, vcc, v45, v59, vcc
	global_store_dwordx4 v[58:59], v[64:67], off
	v_mov_b32_e32 v58, v69
	v_mad_u64_u32 v[58:59], s[0:1], s3, v70, v[58:59]
	v_add_f64 v[56:57], v[139:140], -v[161:162]
	v_add_f64 v[54:55], v[135:136], -v[141:142]
	v_mov_b32_e32 v69, v58
	v_add_u32_e32 v66, 0x64, v122
	v_lshlrev_b64 v[58:59], 4, v[68:69]
	v_mad_u64_u32 v[64:65], s[0:1], s2, v66, 0
	v_add_co_u32_e32 v58, vcc, v44, v58
	v_addc_co_u32_e32 v59, vcc, v45, v59, vcc
	global_store_dwordx4 v[58:59], v[54:57], off
	v_add_u32_e32 v58, 0x190, v122
	v_add_f64 v[88:89], v[52:53], -v[197:198]
	v_add_f64 v[52:53], v[52:53], v[197:198]
	v_mad_u64_u32 v[65:66], s[4:5], s3, v66, v[65:66]
	v_mad_u64_u32 v[56:57], s[4:5], s2, v58, 0
	v_add_f64 v[42:43], v[187:188], v[195:196]
	v_lshlrev_b64 v[54:55], 4, v[64:65]
	v_mad_u64_u32 v[57:58], s[4:5], s3, v58, v[57:58]
	v_add_co_u32_e32 v54, vcc, v44, v54
	v_addc_co_u32_e32 v55, vcc, v45, v55, vcc
	v_add_u32_e32 v64, 0x2bc, v122
	v_mad_u64_u32 v[58:59], s[4:5], s2, v64, 0
	global_store_dwordx4 v[54:55], v[50:53], off
	v_add_f64 v[84:85], v[187:188], -v[195:196]
	v_lshlrev_b64 v[50:51], 4, v[56:57]
	v_mov_b32_e32 v52, v59
	v_add_co_u32_e32 v50, vcc, v44, v50
	v_addc_co_u32_e32 v51, vcc, v45, v51, vcc
	global_store_dwordx4 v[50:51], v[40:43], off
	v_add_u32_e32 v50, 0x3e8, v122
	v_mad_u64_u32 v[52:53], s[4:5], s3, v64, v[52:53]
	v_mad_u64_u32 v[42:43], s[4:5], s2, v50, 0
	v_mov_b32_e32 v59, v52
	v_add_u32_e32 v53, 0x514, v122
	v_mad_u64_u32 v[50:51], s[4:5], s3, v50, v[43:44]
	v_lshlrev_b64 v[40:41], 4, v[58:59]
	v_mad_u64_u32 v[51:52], s[4:5], s2, v53, 0
	v_add_co_u32_e32 v40, vcc, v44, v40
	v_addc_co_u32_e32 v41, vcc, v45, v41, vcc
	global_store_dwordx4 v[40:41], v[36:39], off
	v_add_u32_e32 v40, 0x640, v122
	v_mov_b32_e32 v38, v52
	v_mad_u64_u32 v[38:39], s[4:5], s3, v53, v[38:39]
	v_mov_b32_e32 v43, v50
	v_lshlrev_b64 v[36:37], 4, v[42:43]
	v_mov_b32_e32 v52, v38
	v_mad_u64_u32 v[38:39], s[4:5], s2, v40, 0
	v_add_co_u32_e32 v36, vcc, v44, v36
	v_addc_co_u32_e32 v37, vcc, v45, v37, vcc
	v_mad_u64_u32 v[39:40], s[4:5], s3, v40, v[39:40]
	v_add_u32_e32 v42, 0x76c, v122
	global_store_dwordx4 v[36:37], v[94:97], off
	v_lshlrev_b64 v[36:37], 4, v[51:52]
	v_mad_u64_u32 v[40:41], s[4:5], s2, v42, 0
	v_add_co_u32_e32 v36, vcc, v44, v36
	v_addc_co_u32_e32 v37, vcc, v45, v37, vcc
	global_store_dwordx4 v[36:37], v[90:93], off
	v_lshlrev_b64 v[36:37], 4, v[38:39]
	v_mov_b32_e32 v38, v41
	v_mad_u64_u32 v[38:39], s[4:5], s3, v42, v[38:39]
	v_add_co_u32_e32 v36, vcc, v44, v36
	v_addc_co_u32_e32 v37, vcc, v45, v37, vcc
	v_mov_b32_e32 v41, v38
	global_store_dwordx4 v[36:37], v[86:89], off
	v_lshlrev_b64 v[36:37], 4, v[40:41]
	v_add_u32_e32 v40, 0x898, v122
	v_mad_u64_u32 v[38:39], s[4:5], s2, v40, 0
	v_add_u32_e32 v42, 0x9c4, v122
	v_add_co_u32_e32 v36, vcc, v44, v36
	v_mad_u64_u32 v[39:40], s[4:5], s3, v40, v[39:40]
	v_mad_u64_u32 v[40:41], s[4:5], s2, v42, 0
	v_addc_co_u32_e32 v37, vcc, v45, v37, vcc
	global_store_dwordx4 v[36:37], v[82:85], off
	v_lshlrev_b64 v[36:37], 4, v[38:39]
	v_mov_b32_e32 v38, v41
	v_mad_u64_u32 v[38:39], s[4:5], s3, v42, v[38:39]
	v_add_co_u32_e32 v36, vcc, v44, v36
	v_addc_co_u32_e32 v37, vcc, v45, v37, vcc
	v_mov_b32_e32 v41, v38
	global_store_dwordx4 v[36:37], v[78:81], off
	v_lshlrev_b64 v[36:37], 4, v[40:41]
	v_add_u32_e32 v40, 0xaf0, v122
	v_mad_u64_u32 v[38:39], s[4:5], s2, v40, 0
	s_mov_b32 s1, 0x1b4e81b5
	v_add_co_u32_e32 v36, vcc, v44, v36
	v_mad_u64_u32 v[39:40], s[4:5], s3, v40, v[39:40]
	v_add_u32_e32 v40, 0xc8, v122
	v_mul_hi_u32 v41, v40, s1
	v_addc_co_u32_e32 v37, vcc, v45, v37, vcc
	s_movk_i32 s0, 0xa8c
	global_store_dwordx4 v[36:37], v[74:77], off
	v_lshlrev_b64 v[36:37], 4, v[38:39]
	v_lshrrev_b32_e32 v38, 5, v41
	v_mad_u32_u24 v42, v38, s0, v40
	v_mad_u64_u32 v[38:39], s[0:1], s2, v42, 0
	v_add_u32_e32 v43, 0x12c, v42
	v_add_co_u32_e32 v36, vcc, v44, v36
	v_mad_u64_u32 v[39:40], s[0:1], s3, v42, v[39:40]
	v_mad_u64_u32 v[40:41], s[0:1], s2, v43, 0
	v_addc_co_u32_e32 v37, vcc, v45, v37, vcc
	global_store_dwordx4 v[36:37], v[60:63], off
	v_lshlrev_b64 v[36:37], 4, v[38:39]
	v_mov_b32_e32 v38, v41
	v_mad_u64_u32 v[38:39], s[0:1], s3, v43, v[38:39]
	v_add_co_u32_e32 v36, vcc, v44, v36
	v_addc_co_u32_e32 v37, vcc, v45, v37, vcc
	v_mov_b32_e32 v41, v38
	global_store_dwordx4 v[36:37], v[46:49], off
	v_lshlrev_b64 v[36:37], 4, v[40:41]
	v_add_u32_e32 v40, 0x258, v42
	v_mad_u64_u32 v[38:39], s[0:1], s2, v40, 0
	v_add_co_u32_e32 v36, vcc, v44, v36
	v_mad_u64_u32 v[39:40], s[0:1], s3, v40, v[39:40]
	v_add_u32_e32 v43, 0x384, v42
	v_addc_co_u32_e32 v37, vcc, v45, v37, vcc
	v_mad_u64_u32 v[40:41], s[0:1], s2, v43, 0
	global_store_dwordx4 v[36:37], v[32:35], off
	s_nop 0
	v_lshlrev_b64 v[32:33], 4, v[38:39]
	v_mov_b32_e32 v34, v41
	v_add_co_u32_e32 v32, vcc, v44, v32
	v_addc_co_u32_e32 v33, vcc, v45, v33, vcc
	v_mad_u64_u32 v[34:35], s[0:1], s3, v43, v[34:35]
	global_store_dwordx4 v[32:33], v[28:31], off
	v_add_u32_e32 v32, 0x4b0, v42
	v_mad_u64_u32 v[30:31], s[0:1], s2, v32, 0
	v_mov_b32_e32 v41, v34
	v_lshlrev_b64 v[28:29], 4, v[40:41]
	v_mad_u64_u32 v[31:32], s[0:1], s3, v32, v[31:32]
	v_add_co_u32_e32 v28, vcc, v44, v28
	v_add_u32_e32 v34, 0x5dc, v42
	v_addc_co_u32_e32 v29, vcc, v45, v29, vcc
	v_mad_u64_u32 v[32:33], s[0:1], s2, v34, 0
	global_store_dwordx4 v[28:29], v[24:27], off
	s_nop 0
	v_lshlrev_b64 v[24:25], 4, v[30:31]
	v_mov_b32_e32 v26, v33
	v_add_co_u32_e32 v24, vcc, v44, v24
	v_addc_co_u32_e32 v25, vcc, v45, v25, vcc
	v_mad_u64_u32 v[26:27], s[0:1], s3, v34, v[26:27]
	global_store_dwordx4 v[24:25], v[20:23], off
	v_add_u32_e32 v24, 0x708, v42
	v_mad_u64_u32 v[22:23], s[0:1], s2, v24, 0
	v_mov_b32_e32 v33, v26
	v_lshlrev_b64 v[20:21], 4, v[32:33]
	v_mad_u64_u32 v[23:24], s[0:1], s3, v24, v[23:24]
	v_add_co_u32_e32 v20, vcc, v44, v20
	v_addc_co_u32_e32 v21, vcc, v45, v21, vcc
	v_add_u32_e32 v26, 0x834, v42
	v_mad_u64_u32 v[24:25], s[0:1], s2, v26, 0
	global_store_dwordx4 v[20:21], v[16:19], off
	s_nop 0
	v_lshlrev_b64 v[16:17], 4, v[22:23]
	v_mov_b32_e32 v18, v25
	v_add_co_u32_e32 v16, vcc, v44, v16
	v_addc_co_u32_e32 v17, vcc, v45, v17, vcc
	global_store_dwordx4 v[16:17], v[12:15], off
	v_add_u32_e32 v16, 0x960, v42
	v_mad_u64_u32 v[18:19], s[0:1], s3, v26, v[18:19]
	v_mad_u64_u32 v[14:15], s[0:1], s2, v16, 0
	v_mov_b32_e32 v25, v18
	v_add_u32_e32 v18, 0xa8c, v42
	v_mad_u64_u32 v[15:16], s[0:1], s3, v16, v[15:16]
	v_lshlrev_b64 v[12:13], 4, v[24:25]
	v_mad_u64_u32 v[16:17], s[0:1], s2, v18, 0
	v_add_co_u32_e32 v12, vcc, v44, v12
	v_addc_co_u32_e32 v13, vcc, v45, v13, vcc
	global_store_dwordx4 v[12:13], v[8:11], off
	s_nop 0
	v_mov_b32_e32 v10, v17
	v_mad_u64_u32 v[10:11], s[0:1], s3, v18, v[10:11]
	v_lshlrev_b64 v[8:9], 4, v[14:15]
	v_add_co_u32_e32 v8, vcc, v44, v8
	v_addc_co_u32_e32 v9, vcc, v45, v9, vcc
	v_mov_b32_e32 v17, v10
	global_store_dwordx4 v[8:9], v[4:7], off
	s_nop 0
	v_lshlrev_b64 v[4:5], 4, v[16:17]
	v_add_co_u32_e32 v4, vcc, v44, v4
	v_addc_co_u32_e32 v5, vcc, v45, v5, vcc
	global_store_dwordx4 v[4:5], v[0:3], off
.LBB0_15:
	s_endpgm
	.section	.rodata,"a",@progbits
	.p2align	6, 0x0
	.amdhsa_kernel fft_rtc_fwd_len3000_factors_10_3_10_10_wgs_100_tpt_100_halfLds_dp_ip_CI_sbrr_dirReg
		.amdhsa_group_segment_fixed_size 0
		.amdhsa_private_segment_fixed_size 0
		.amdhsa_kernarg_size 88
		.amdhsa_user_sgpr_count 6
		.amdhsa_user_sgpr_private_segment_buffer 1
		.amdhsa_user_sgpr_dispatch_ptr 0
		.amdhsa_user_sgpr_queue_ptr 0
		.amdhsa_user_sgpr_kernarg_segment_ptr 1
		.amdhsa_user_sgpr_dispatch_id 0
		.amdhsa_user_sgpr_flat_scratch_init 0
		.amdhsa_user_sgpr_private_segment_size 0
		.amdhsa_uses_dynamic_stack 0
		.amdhsa_system_sgpr_private_segment_wavefront_offset 0
		.amdhsa_system_sgpr_workgroup_id_x 1
		.amdhsa_system_sgpr_workgroup_id_y 0
		.amdhsa_system_sgpr_workgroup_id_z 0
		.amdhsa_system_sgpr_workgroup_info 0
		.amdhsa_system_vgpr_workitem_id 0
		.amdhsa_next_free_vgpr 246
		.amdhsa_next_free_sgpr 24
		.amdhsa_reserve_vcc 1
		.amdhsa_reserve_flat_scratch 0
		.amdhsa_float_round_mode_32 0
		.amdhsa_float_round_mode_16_64 0
		.amdhsa_float_denorm_mode_32 3
		.amdhsa_float_denorm_mode_16_64 3
		.amdhsa_dx10_clamp 1
		.amdhsa_ieee_mode 1
		.amdhsa_fp16_overflow 0
		.amdhsa_exception_fp_ieee_invalid_op 0
		.amdhsa_exception_fp_denorm_src 0
		.amdhsa_exception_fp_ieee_div_zero 0
		.amdhsa_exception_fp_ieee_overflow 0
		.amdhsa_exception_fp_ieee_underflow 0
		.amdhsa_exception_fp_ieee_inexact 0
		.amdhsa_exception_int_div_zero 0
	.end_amdhsa_kernel
	.text
.Lfunc_end0:
	.size	fft_rtc_fwd_len3000_factors_10_3_10_10_wgs_100_tpt_100_halfLds_dp_ip_CI_sbrr_dirReg, .Lfunc_end0-fft_rtc_fwd_len3000_factors_10_3_10_10_wgs_100_tpt_100_halfLds_dp_ip_CI_sbrr_dirReg
                                        ; -- End function
	.section	.AMDGPU.csdata,"",@progbits
; Kernel info:
; codeLenInByte = 22736
; NumSgprs: 28
; NumVgprs: 246
; ScratchSize: 0
; MemoryBound: 1
; FloatMode: 240
; IeeeMode: 1
; LDSByteSize: 0 bytes/workgroup (compile time only)
; SGPRBlocks: 3
; VGPRBlocks: 61
; NumSGPRsForWavesPerEU: 28
; NumVGPRsForWavesPerEU: 246
; Occupancy: 1
; WaveLimiterHint : 1
; COMPUTE_PGM_RSRC2:SCRATCH_EN: 0
; COMPUTE_PGM_RSRC2:USER_SGPR: 6
; COMPUTE_PGM_RSRC2:TRAP_HANDLER: 0
; COMPUTE_PGM_RSRC2:TGID_X_EN: 1
; COMPUTE_PGM_RSRC2:TGID_Y_EN: 0
; COMPUTE_PGM_RSRC2:TGID_Z_EN: 0
; COMPUTE_PGM_RSRC2:TIDIG_COMP_CNT: 0
	.type	__hip_cuid_a8434d2a122b4118,@object ; @__hip_cuid_a8434d2a122b4118
	.section	.bss,"aw",@nobits
	.globl	__hip_cuid_a8434d2a122b4118
__hip_cuid_a8434d2a122b4118:
	.byte	0                               ; 0x0
	.size	__hip_cuid_a8434d2a122b4118, 1

	.ident	"AMD clang version 19.0.0git (https://github.com/RadeonOpenCompute/llvm-project roc-6.4.0 25133 c7fe45cf4b819c5991fe208aaa96edf142730f1d)"
	.section	".note.GNU-stack","",@progbits
	.addrsig
	.addrsig_sym __hip_cuid_a8434d2a122b4118
	.amdgpu_metadata
---
amdhsa.kernels:
  - .args:
      - .actual_access:  read_only
        .address_space:  global
        .offset:         0
        .size:           8
        .value_kind:     global_buffer
      - .offset:         8
        .size:           8
        .value_kind:     by_value
      - .actual_access:  read_only
        .address_space:  global
        .offset:         16
        .size:           8
        .value_kind:     global_buffer
      - .actual_access:  read_only
        .address_space:  global
        .offset:         24
        .size:           8
        .value_kind:     global_buffer
      - .offset:         32
        .size:           8
        .value_kind:     by_value
      - .actual_access:  read_only
        .address_space:  global
        .offset:         40
        .size:           8
        .value_kind:     global_buffer
      - .actual_access:  read_only
        .address_space:  global
        .offset:         48
        .size:           8
        .value_kind:     global_buffer
      - .offset:         56
        .size:           4
        .value_kind:     by_value
      - .actual_access:  read_only
        .address_space:  global
        .offset:         64
        .size:           8
        .value_kind:     global_buffer
      - .actual_access:  read_only
        .address_space:  global
        .offset:         72
        .size:           8
        .value_kind:     global_buffer
      - .address_space:  global
        .offset:         80
        .size:           8
        .value_kind:     global_buffer
    .group_segment_fixed_size: 0
    .kernarg_segment_align: 8
    .kernarg_segment_size: 88
    .language:       OpenCL C
    .language_version:
      - 2
      - 0
    .max_flat_workgroup_size: 100
    .name:           fft_rtc_fwd_len3000_factors_10_3_10_10_wgs_100_tpt_100_halfLds_dp_ip_CI_sbrr_dirReg
    .private_segment_fixed_size: 0
    .sgpr_count:     28
    .sgpr_spill_count: 0
    .symbol:         fft_rtc_fwd_len3000_factors_10_3_10_10_wgs_100_tpt_100_halfLds_dp_ip_CI_sbrr_dirReg.kd
    .uniform_work_group_size: 1
    .uses_dynamic_stack: false
    .vgpr_count:     246
    .vgpr_spill_count: 0
    .wavefront_size: 64
amdhsa.target:   amdgcn-amd-amdhsa--gfx906
amdhsa.version:
  - 1
  - 2
...

	.end_amdgpu_metadata
